;; amdgpu-corpus repo=ROCm/rocFFT kind=compiled arch=gfx906 opt=O3
	.text
	.amdgcn_target "amdgcn-amd-amdhsa--gfx906"
	.amdhsa_code_object_version 6
	.protected	bluestein_single_fwd_len119_dim1_dp_op_CI_CI ; -- Begin function bluestein_single_fwd_len119_dim1_dp_op_CI_CI
	.globl	bluestein_single_fwd_len119_dim1_dp_op_CI_CI
	.p2align	8
	.type	bluestein_single_fwd_len119_dim1_dp_op_CI_CI,@function
bluestein_single_fwd_len119_dim1_dp_op_CI_CI: ; @bluestein_single_fwd_len119_dim1_dp_op_CI_CI
; %bb.0:
	s_mov_b64 s[62:63], s[2:3]
	v_mul_u32_u24_e32 v1, 0xf10, v0
	s_mov_b64 s[60:61], s[0:1]
	s_load_dwordx4 s[0:3], s[4:5], 0x28
	v_lshrrev_b32_e32 v1, 16, v1
	s_add_u32 s60, s60, s7
	v_mad_u64_u32 v[128:129], s[6:7], s6, 15, v[1:2]
	v_mov_b32_e32 v129, 0
	s_addc_u32 s61, s61, 0
	s_waitcnt lgkmcnt(0)
	v_cmp_gt_u64_e32 vcc, s[0:1], v[128:129]
	s_and_saveexec_b64 s[0:1], vcc
	s_cbranch_execz .LBB0_15
; %bb.1:
	s_mov_b32 s0, 0x88888889
	v_mul_hi_u32 v2, v128, s0
	s_load_dwordx2 s[6:7], s[4:5], 0x0
	s_load_dwordx2 s[12:13], s[4:5], 0x38
	v_mul_lo_u16_e32 v1, 17, v1
	v_sub_u16_e32 v255, v0, v1
	v_lshrrev_b32_e32 v2, 3, v2
	v_mul_lo_u32 v2, v2, 15
	v_cmp_gt_u16_e32 vcc, 7, v255
	v_lshlrev_b32_e32 v211, 4, v255
	v_sub_u32_e32 v0, v128, v2
	v_mul_u32_u24_e32 v218, 0x77, v0
	v_lshlrev_b32_e32 v0, 4, v218
	buffer_store_dword v0, off, s[60:63], 0 ; 4-byte Folded Spill
	v_or_b32_e32 v0, 56, v255
	buffer_store_dword v0, off, s[60:63], 0 offset:4 ; 4-byte Folded Spill
	s_and_saveexec_b64 s[14:15], vcc
	s_cbranch_execz .LBB0_3
; %bb.2:
	s_load_dwordx2 s[0:1], s[4:5], 0x18
	v_or_b32_e32 v62, 56, v255
	v_mov_b32_e32 v64, 0xe0
	v_or_b32_e32 v121, 0x70, v255
	s_waitcnt lgkmcnt(0)
	s_load_dwordx4 s[8:11], s[0:1], 0x0
	s_waitcnt lgkmcnt(0)
	v_mad_u64_u32 v[0:1], s[0:1], s10, v128, 0
	v_mad_u64_u32 v[2:3], s[0:1], s8, v255, 0
	;; [unrolled: 1-line block ×4, first 2 shown]
	v_mov_b32_e32 v1, v4
	v_lshlrev_b64 v[0:1], 4, v[0:1]
	v_mov_b32_e32 v3, v5
	v_mov_b32_e32 v6, s3
	v_lshlrev_b64 v[2:3], 4, v[2:3]
	v_add_co_u32_e64 v16, s[0:1], s2, v0
	v_addc_co_u32_e64 v17, s[0:1], v6, v1, s[0:1]
	v_add_co_u32_e64 v18, s[0:1], v16, v2
	v_addc_co_u32_e64 v19, s[0:1], v17, v3, s[0:1]
	s_mul_i32 s0, s9, 0x70
	s_mul_hi_u32 s3, s8, 0x70
	s_add_i32 s3, s3, s0
	s_mul_i32 s2, s8, 0x70
	v_mov_b32_e32 v0, s3
	v_add_co_u32_e64 v20, s[0:1], s2, v18
	v_addc_co_u32_e64 v21, s[0:1], v19, v0, s[0:1]
	global_load_dwordx4 v[0:3], v[18:19], off
	global_load_dwordx4 v[4:7], v[20:21], off
	global_load_dwordx4 v[8:11], v211, s[6:7]
	global_load_dwordx4 v[12:15], v211, s[6:7] offset:112
	v_mov_b32_e32 v18, s3
	v_add_co_u32_e64 v34, s[0:1], s2, v20
	v_addc_co_u32_e64 v35, s[0:1], v21, v18, s[0:1]
	v_add_co_u32_e64 v36, s[0:1], s2, v34
	v_addc_co_u32_e64 v37, s[0:1], v35, v18, s[0:1]
	global_load_dwordx4 v[18:21], v[34:35], off
	global_load_dwordx4 v[22:25], v[36:37], off
	global_load_dwordx4 v[26:29], v211, s[6:7] offset:224
	global_load_dwordx4 v[30:33], v211, s[6:7] offset:336
	v_mov_b32_e32 v34, s3
	v_add_co_u32_e64 v38, s[0:1], s2, v36
	v_addc_co_u32_e64 v39, s[0:1], v37, v34, s[0:1]
	v_mov_b32_e32 v40, s3
	v_add_co_u32_e64 v58, s[0:1], s2, v38
	v_addc_co_u32_e64 v59, s[0:1], v39, v40, s[0:1]
	v_mad_u64_u32 v[60:61], s[0:1], s8, v62, 0
	v_mov_b32_e32 v63, s3
	v_mov_b32_e32 v65, s3
	v_mad_u64_u32 v[61:62], s[0:1], s9, v62, v[61:62]
	global_load_dwordx4 v[34:37], v[38:39], off
	s_nop 0
	global_load_dwordx4 v[38:41], v211, s[6:7] offset:448
	global_load_dwordx4 v[42:45], v211, s[6:7] offset:560
	v_lshlrev_b64 v[60:61], 4, v[60:61]
	v_mov_b32_e32 v84, s3
	v_add_co_u32_e64 v70, s[0:1], v16, v60
	v_addc_co_u32_e64 v71, s[0:1], v17, v61, s[0:1]
	v_add_co_u32_e64 v62, s[0:1], s2, v58
	v_addc_co_u32_e64 v63, s[0:1], v59, v63, s[0:1]
	;; [unrolled: 2-line block ×3, first 2 shown]
	v_mad_u64_u32 v[82:83], s[0:1], s8, v64, v[72:73]
	s_mul_i32 s0, s9, 0xe0
	v_mov_b32_e32 v88, s3
	v_add_u32_e32 v83, s0, v83
	v_add_co_u32_e64 v86, s[0:1], s2, v82
	v_addc_co_u32_e64 v87, s[0:1], v83, v84, s[0:1]
	v_add_co_u32_e64 v98, s[0:1], s2, v86
	v_addc_co_u32_e64 v99, s[0:1], v87, v88, s[0:1]
	global_load_dwordx4 v[46:49], v[58:59], off
	global_load_dwordx4 v[50:53], v211, s[6:7] offset:672
	global_load_dwordx4 v[54:57], v211, s[6:7] offset:784
	v_mov_b32_e32 v100, s3
	global_load_dwordx4 v[58:61], v[62:63], off
	v_add_co_u32_e64 v102, s[0:1], s2, v98
	v_addc_co_u32_e64 v103, s[0:1], v99, v100, s[0:1]
	v_mov_b32_e32 v104, s3
	v_add_co_u32_e64 v114, s[0:1], s2, v102
	global_load_dwordx4 v[62:65], v[72:73], off
	global_load_dwordx4 v[66:69], v[70:71], off
	v_addc_co_u32_e64 v115, s[0:1], v103, v104, s[0:1]
	global_load_dwordx4 v[70:73], v[82:83], off
	global_load_dwordx4 v[74:77], v211, s[6:7] offset:896
	global_load_dwordx4 v[78:81], v211, s[6:7] offset:1008
	v_mov_b32_e32 v116, s3
	v_add_co_u32_e64 v118, s[0:1], s2, v114
	v_addc_co_u32_e64 v119, s[0:1], v115, v116, s[0:1]
	v_mad_u64_u32 v[126:127], s[0:1], s8, v121, 0
	global_load_dwordx4 v[82:85], v[86:87], off
	s_nop 0
	global_load_dwordx4 v[86:89], v[98:99], off
	global_load_dwordx4 v[90:93], v211, s[6:7] offset:1120
	global_load_dwordx4 v[94:97], v211, s[6:7] offset:1232
	v_mov_b32_e32 v120, s3
	global_load_dwordx4 v[98:101], v[102:103], off
	s_nop 0
	global_load_dwordx4 v[102:105], v[114:115], off
	global_load_dwordx4 v[106:109], v211, s[6:7] offset:1344
	global_load_dwordx4 v[110:113], v211, s[6:7] offset:1456
	s_waitcnt vmcnt(21)
	v_mul_f64 v[141:142], v[20:21], v[28:29]
	global_load_dwordx4 v[114:117], v[118:119], off
	v_add_co_u32_e64 v118, s[0:1], s2, v118
	v_addc_co_u32_e64 v119, s[0:1], v119, v120, s[0:1]
	v_mov_b32_e32 v120, v127
	v_mad_u64_u32 v[133:134], s[0:1], s9, v121, v[120:121]
	global_load_dwordx4 v[118:121], v[118:119], off
	s_nop 0
	global_load_dwordx4 v[122:125], v211, s[6:7] offset:1568
	global_load_dwordx4 v[129:132], v211, s[6:7] offset:1680
	v_mul_f64 v[28:29], v[18:19], v[28:29]
	v_mov_b32_e32 v127, v133
	v_lshlrev_b64 v[126:127], 4, v[126:127]
	s_waitcnt vmcnt(24)
	v_mul_f64 v[143:144], v[24:25], v[32:33]
	v_add_co_u32_e64 v16, s[0:1], v16, v126
	v_addc_co_u32_e64 v17, s[0:1], v17, v127, s[0:1]
	global_load_dwordx4 v[133:136], v[16:17], off
	global_load_dwordx4 v[137:140], v211, s[6:7] offset:1792
	v_mul_f64 v[16:17], v[2:3], v[10:11]
	v_mul_f64 v[10:11], v[0:1], v[10:11]
	;; [unrolled: 1-line block ×5, first 2 shown]
	s_waitcnt vmcnt(24)
	v_mul_f64 v[145:146], v[36:37], v[40:41]
	v_mul_f64 v[40:41], v[34:35], v[40:41]
	v_fma_f64 v[0:1], v[0:1], v[8:9], v[16:17]
	v_fma_f64 v[2:3], v[2:3], v[8:9], -v[10:11]
	v_fma_f64 v[8:9], v[18:19], v[26:27], v[141:142]
	v_fma_f64 v[10:11], v[20:21], v[26:27], -v[28:29]
	;; [unrolled: 2-line block ×5, first 2 shown]
	s_waitcnt vmcnt(22)
	v_mul_f64 v[147:148], v[48:49], v[44:45]
	v_mul_f64 v[44:45], v[46:47], v[44:45]
	s_waitcnt vmcnt(19)
	v_mul_f64 v[26:27], v[60:61], v[52:53]
	v_mul_f64 v[28:29], v[58:59], v[52:53]
	v_fma_f64 v[20:21], v[46:47], v[42:43], v[147:148]
	v_fma_f64 v[22:23], v[48:49], v[42:43], -v[44:45]
	s_waitcnt vmcnt(18)
	v_mul_f64 v[30:31], v[64:65], v[56:57]
	v_mul_f64 v[32:33], v[62:63], v[56:57]
	v_fma_f64 v[24:25], v[58:59], v[50:51], v[26:27]
	s_waitcnt vmcnt(15)
	v_mul_f64 v[34:35], v[68:69], v[76:77]
	v_mul_f64 v[36:37], v[66:67], v[76:77]
	v_fma_f64 v[26:27], v[60:61], v[50:51], -v[28:29]
	v_lshlrev_b32_e32 v29, 4, v218
	v_lshl_add_u32 v28, v255, 4, v29
	ds_write_b128 v28, v[0:3]
	v_fma_f64 v[0:1], v[62:63], v[54:55], v[30:31]
	v_fma_f64 v[2:3], v[64:65], v[54:55], -v[32:33]
	v_add_u32_e32 v38, v29, v211
	v_fma_f64 v[28:29], v[66:67], v[74:75], v[34:35]
	v_fma_f64 v[30:31], v[68:69], v[74:75], -v[36:37]
	ds_write_b128 v38, v[4:7] offset:112
	ds_write_b128 v38, v[8:11] offset:224
	;; [unrolled: 1-line block ×8, first 2 shown]
	s_waitcnt vmcnt(14)
	v_mul_f64 v[0:1], v[72:73], v[80:81]
	v_mul_f64 v[2:3], v[70:71], v[80:81]
	s_waitcnt vmcnt(11)
	v_mul_f64 v[4:5], v[84:85], v[92:93]
	v_mul_f64 v[6:7], v[82:83], v[92:93]
	s_waitcnt vmcnt(10)
	v_mul_f64 v[8:9], v[88:89], v[96:97]
	v_mul_f64 v[10:11], v[86:87], v[96:97]
	s_waitcnt vmcnt(7)
	v_mul_f64 v[12:13], v[100:101], v[108:109]
	v_mul_f64 v[14:15], v[98:99], v[108:109]
	s_waitcnt vmcnt(6)
	v_mul_f64 v[16:17], v[104:105], v[112:113]
	v_mul_f64 v[18:19], v[102:103], v[112:113]
	v_fma_f64 v[0:1], v[70:71], v[78:79], v[0:1]
	v_fma_f64 v[2:3], v[72:73], v[78:79], -v[2:3]
	v_fma_f64 v[4:5], v[82:83], v[90:91], v[4:5]
	v_fma_f64 v[6:7], v[84:85], v[90:91], -v[6:7]
	v_fma_f64 v[8:9], v[86:87], v[94:95], v[8:9]
	v_fma_f64 v[10:11], v[88:89], v[94:95], -v[10:11]
	v_fma_f64 v[12:13], v[98:99], v[106:107], v[12:13]
	s_waitcnt vmcnt(3)
	v_mul_f64 v[20:21], v[116:117], v[124:125]
	v_mul_f64 v[22:23], v[114:115], v[124:125]
	s_waitcnt vmcnt(2)
	v_mul_f64 v[24:25], v[120:121], v[131:132]
	v_mul_f64 v[26:27], v[118:119], v[131:132]
	v_fma_f64 v[14:15], v[100:101], v[106:107], -v[14:15]
	v_fma_f64 v[16:17], v[102:103], v[110:111], v[16:17]
	v_fma_f64 v[18:19], v[104:105], v[110:111], -v[18:19]
	v_fma_f64 v[20:21], v[114:115], v[122:123], v[20:21]
	v_fma_f64 v[22:23], v[116:117], v[122:123], -v[22:23]
	s_waitcnt vmcnt(0)
	v_mul_f64 v[28:29], v[135:136], v[139:140]
	v_mul_f64 v[30:31], v[133:134], v[139:140]
	v_fma_f64 v[24:25], v[118:119], v[129:130], v[24:25]
	v_fma_f64 v[26:27], v[120:121], v[129:130], -v[26:27]
	v_fma_f64 v[28:29], v[133:134], v[137:138], v[28:29]
	v_fma_f64 v[30:31], v[135:136], v[137:138], -v[30:31]
	ds_write_b128 v38, v[0:3] offset:1008
	ds_write_b128 v38, v[4:7] offset:1120
	;; [unrolled: 1-line block ×8, first 2 shown]
.LBB0_3:
	s_or_b64 exec, exec, s[14:15]
	s_load_dwordx2 s[0:1], s[4:5], 0x20
	s_load_dwordx2 s[8:9], s[4:5], 0x8
	s_waitcnt vmcnt(0) lgkmcnt(0)
	s_barrier
	s_waitcnt lgkmcnt(0)
                                        ; implicit-def: $vgpr102_vgpr103
                                        ; implicit-def: $vgpr98_vgpr99
                                        ; implicit-def: $vgpr94_vgpr95
                                        ; implicit-def: $vgpr90_vgpr91
                                        ; implicit-def: $vgpr42_vgpr43
                                        ; implicit-def: $vgpr104_vgpr105
                                        ; implicit-def: $vgpr52_vgpr53
                                        ; implicit-def: $vgpr44_vgpr45
                                        ; implicit-def: $vgpr48_vgpr49
                                        ; implicit-def: $vgpr56_vgpr57
                                        ; implicit-def: $vgpr60_vgpr61
                                        ; implicit-def: $vgpr64_vgpr65
                                        ; implicit-def: $vgpr68_vgpr69
                                        ; implicit-def: $vgpr72_vgpr73
                                        ; implicit-def: $vgpr76_vgpr77
                                        ; implicit-def: $vgpr80_vgpr81
                                        ; implicit-def: $vgpr84_vgpr85
	s_and_saveexec_b64 s[2:3], vcc
	s_cbranch_execz .LBB0_5
; %bb.4:
	v_lshl_add_u32 v0, v218, 4, v211
	ds_read_b128 v[40:43], v0
	ds_read_b128 v[88:91], v0 offset:112
	ds_read_b128 v[92:95], v0 offset:224
	;; [unrolled: 1-line block ×16, first 2 shown]
.LBB0_5:
	s_or_b64 exec, exec, s[2:3]
	s_waitcnt lgkmcnt(0)
	v_add_f64 v[2:3], v[90:91], -v[86:87]
	s_mov_b32 s38, 0x5d8e7cdc
	s_mov_b32 s39, 0xbfd71e95
	v_add_f64 v[0:1], v[88:89], -v[84:85]
	v_add_f64 v[110:111], v[94:95], -v[82:83]
	s_mov_b32 s46, 0x2a9d6da3
	s_mov_b32 s36, 0x7c9e640b
	;; [unrolled: 1-line block ×3, first 2 shown]
	v_mul_f64 v[4:5], v[2:3], s[38:39]
	s_mov_b32 s24, 0x923c349f
	s_mov_b32 s26, 0x6c9a05f6
	;; [unrolled: 1-line block ×7, first 2 shown]
	v_mul_f64 v[6:7], v[0:1], s[38:39]
	buffer_store_dword v4, off, s[60:63], 0 offset:8 ; 4-byte Folded Spill
	s_nop 0
	buffer_store_dword v5, off, s[60:63], 0 offset:12 ; 4-byte Folded Spill
	v_mul_f64 v[8:9], v[2:3], s[46:47]
	v_mul_f64 v[10:11], v[0:1], s[46:47]
	;; [unrolled: 1-line block ×10, first 2 shown]
	v_add_f64 v[108:109], v[92:93], -v[80:81]
	v_mul_f64 v[112:113], v[110:111], s[46:47]
	buffer_store_dword v6, off, s[60:63], 0 offset:16 ; 4-byte Folded Spill
	s_nop 0
	buffer_store_dword v7, off, s[60:63], 0 offset:20 ; 4-byte Folded Spill
	buffer_store_dword v8, off, s[60:63], 0 offset:24 ; 4-byte Folded Spill
	s_nop 0
	buffer_store_dword v9, off, s[60:63], 0 offset:28 ; 4-byte Folded Spill
	;; [unrolled: 3-line block ×11, first 2 shown]
	v_mul_f64 v[118:119], v[108:109], s[46:47]
	buffer_store_dword v112, off, s[60:63], 0 offset:88 ; 4-byte Folded Spill
	s_nop 0
	buffer_store_dword v113, off, s[60:63], 0 offset:92 ; 4-byte Folded Spill
	buffer_store_dword v118, off, s[60:63], 0 offset:96 ; 4-byte Folded Spill
	s_nop 0
	buffer_store_dword v119, off, s[60:63], 0 offset:100 ; 4-byte Folded Spill
	v_add_f64 v[114:115], v[88:89], v[84:85]
	s_mov_b32 s2, 0x370991
	s_mov_b32 s3, 0x3fedd6d0
	v_add_f64 v[116:117], v[90:91], v[86:87]
	v_add_f64 v[124:125], v[92:93], v[80:81]
	s_mov_b32 s20, 0x75d4884
	s_mov_b32 s21, 0x3fe7a5f6
	v_add_f64 v[126:127], v[94:95], v[82:83]
	s_mov_b32 s10, 0x3259b75e
	s_mov_b32 s11, 0x3fb79ee6
	;; [unrolled: 1-line block ×20, first 2 shown]
	v_mul_f64 v[28:29], v[2:3], s[30:31]
	s_mov_b32 s29, 0x3feca52d
	s_mov_b32 s28, s36
	v_mul_f64 v[32:33], v[0:1], s[30:31]
	v_mul_f64 v[2:3], v[2:3], s[34:35]
	s_mov_b32 s45, 0x3fd71e95
	s_mov_b32 s44, s38
	v_mul_f64 v[0:1], v[0:1], s[34:35]
	v_fma_f64 v[30:31], v[114:115], s[14:15], -v[28:29]
	v_fma_f64 v[28:29], v[114:115], s[14:15], v[28:29]
	v_add_f64 v[153:154], v[96:97], v[76:77]
	v_fma_f64 v[34:35], v[116:117], s[14:15], v[32:33]
	v_fma_f64 v[32:33], v[116:117], s[14:15], -v[32:33]
	v_fma_f64 v[36:37], v[114:115], s[18:19], -v[2:3]
	v_fma_f64 v[2:3], v[114:115], s[18:19], v[2:3]
	v_fma_f64 v[38:39], v[116:117], s[18:19], v[0:1]
	v_add_f64 v[30:31], v[40:41], v[30:31]
	v_add_f64 v[28:29], v[40:41], v[28:29]
	v_fma_f64 v[4:5], v[114:115], s[2:3], v[4:5]
	v_fma_f64 v[0:1], v[116:117], s[18:19], -v[0:1]
	v_add_f64 v[32:33], v[42:43], v[32:33]
	v_add_f64 v[36:37], v[40:41], v[36:37]
	;; [unrolled: 1-line block ×5, first 2 shown]
	s_mov_b32 s43, 0x3fc7851a
	v_add_f64 v[4:5], v[40:41], v[4:5]
	v_add_f64 v[0:1], v[42:43], v[0:1]
	s_mov_b32 s42, s34
	v_add_f64 v[34:35], v[42:43], v[34:35]
	v_add_f64 v[179:180], v[100:101], v[72:73]
	v_fma_f64 v[6:7], v[116:117], s[2:3], -v[6:7]
	v_fma_f64 v[8:9], v[114:115], s[20:21], v[8:9]
	v_fma_f64 v[10:11], v[116:117], s[20:21], -v[10:11]
	v_fma_f64 v[12:13], v[114:115], s[4:5], v[12:13]
	;; [unrolled: 2-line block ×4, first 2 shown]
	v_add_f64 v[6:7], v[42:43], v[6:7]
	v_add_f64 v[8:9], v[40:41], v[8:9]
	;; [unrolled: 1-line block ×4, first 2 shown]
	v_fma_f64 v[112:113], v[124:125], s[20:21], v[112:113]
	v_add_f64 v[14:15], v[42:43], v[14:15]
	v_add_f64 v[16:17], v[40:41], v[16:17]
	;; [unrolled: 1-line block ×4, first 2 shown]
	v_fma_f64 v[22:23], v[116:117], s[16:17], -v[22:23]
	v_fma_f64 v[24:25], v[114:115], s[22:23], v[24:25]
	v_fma_f64 v[26:27], v[116:117], s[22:23], -v[26:27]
	v_add_f64 v[4:5], v[112:113], v[4:5]
	v_fma_f64 v[112:113], v[126:127], s[20:21], -v[118:119]
	v_mul_f64 v[118:119], v[108:109], s[40:41]
	v_add_f64 v[181:182], v[102:103], v[74:75]
	s_mov_b32 s53, 0x3fe9895b
	v_add_f64 v[22:23], v[42:43], v[22:23]
	v_add_f64 v[24:25], v[40:41], v[24:25]
	;; [unrolled: 1-line block ×3, first 2 shown]
	s_mov_b32 s52, s26
	v_add_f64 v[6:7], v[112:113], v[6:7]
	v_mul_f64 v[112:113], v[110:111], s[40:41]
	buffer_store_dword v112, off, s[60:63], 0 offset:104 ; 4-byte Folded Spill
	s_nop 0
	buffer_store_dword v113, off, s[60:63], 0 offset:108 ; 4-byte Folded Spill
	buffer_store_dword v118, off, s[60:63], 0 offset:128 ; 4-byte Folded Spill
	s_nop 0
	buffer_store_dword v119, off, s[60:63], 0 offset:132 ; 4-byte Folded Spill
	v_add_f64 v[207:208], v[104:105], v[68:69]
	v_add_f64 v[209:210], v[106:107], v[70:71]
	;; [unrolled: 1-line block ×4, first 2 shown]
	v_add_f64 v[157:158], v[46:47], -v[62:63]
	v_add_f64 v[151:152], v[44:45], -v[60:61]
	;; [unrolled: 1-line block ×4, first 2 shown]
	v_mul_f64 v[167:168], v[157:158], s[52:53]
	v_mul_f64 v[139:140], v[151:152], s[28:29]
	;; [unrolled: 1-line block ×15, first 2 shown]
	v_fma_f64 v[112:113], v[124:125], s[10:11], v[112:113]
	v_add_f64 v[8:9], v[112:113], v[8:9]
	v_fma_f64 v[112:113], v[126:127], s[10:11], -v[118:119]
	v_mul_f64 v[118:119], v[108:109], s[26:27]
	v_add_f64 v[10:11], v[112:113], v[10:11]
	v_mul_f64 v[112:113], v[110:111], s[26:27]
	buffer_store_dword v112, off, s[60:63], 0 offset:136 ; 4-byte Folded Spill
	s_nop 0
	buffer_store_dword v113, off, s[60:63], 0 offset:140 ; 4-byte Folded Spill
	buffer_store_dword v118, off, s[60:63], 0 offset:144 ; 4-byte Folded Spill
	s_nop 0
	buffer_store_dword v119, off, s[60:63], 0 offset:148 ; 4-byte Folded Spill
	v_fma_f64 v[112:113], v[124:125], s[22:23], v[112:113]
	v_add_f64 v[12:13], v[112:113], v[12:13]
	v_fma_f64 v[112:113], v[126:127], s[22:23], -v[118:119]
	v_mul_f64 v[118:119], v[108:109], s[34:35]
	v_add_f64 v[14:15], v[112:113], v[14:15]
	v_mul_f64 v[112:113], v[110:111], s[34:35]
	buffer_store_dword v112, off, s[60:63], 0 offset:152 ; 4-byte Folded Spill
	s_nop 0
	buffer_store_dword v113, off, s[60:63], 0 offset:156 ; 4-byte Folded Spill
	buffer_store_dword v118, off, s[60:63], 0 offset:160 ; 4-byte Folded Spill
	s_nop 0
	buffer_store_dword v119, off, s[60:63], 0 offset:164 ; 4-byte Folded Spill
	;; [unrolled: 12-line block ×4, first 2 shown]
	v_fma_f64 v[112:113], v[124:125], s[16:17], v[112:113]
	v_add_f64 v[24:25], v[112:113], v[24:25]
	v_fma_f64 v[112:113], v[126:127], s[16:17], -v[118:119]
	v_add_f64 v[26:27], v[112:113], v[26:27]
	v_mul_f64 v[112:113], v[110:111], s[28:29]
	v_mul_f64 v[110:111], v[110:111], s[44:45]
	v_fma_f64 v[118:119], v[124:125], s[4:5], -v[112:113]
	v_fma_f64 v[112:113], v[124:125], s[4:5], v[112:113]
	v_add_f64 v[30:31], v[118:119], v[30:31]
	v_mul_f64 v[118:119], v[108:109], s[28:29]
	v_add_f64 v[28:29], v[112:113], v[28:29]
	v_mul_f64 v[108:109], v[108:109], s[44:45]
	v_fma_f64 v[112:113], v[126:127], s[4:5], -v[118:119]
	v_fma_f64 v[120:121], v[126:127], s[4:5], v[118:119]
	v_add_f64 v[32:33], v[112:113], v[32:33]
	v_fma_f64 v[112:113], v[124:125], s[2:3], -v[110:111]
	v_fma_f64 v[110:111], v[124:125], s[2:3], v[110:111]
	v_add_f64 v[34:35], v[120:121], v[34:35]
	v_add_f64 v[36:37], v[112:113], v[36:37]
	v_fma_f64 v[112:113], v[126:127], s[2:3], v[108:109]
	v_add_f64 v[2:3], v[110:111], v[2:3]
	v_fma_f64 v[108:109], v[126:127], s[2:3], -v[108:109]
	v_add_f64 v[110:111], v[98:99], -v[78:79]
	v_add_f64 v[38:39], v[112:113], v[38:39]
	v_add_f64 v[0:1], v[108:109], v[0:1]
	v_add_f64 v[108:109], v[96:97], -v[76:77]
	v_mul_f64 v[112:113], v[110:111], s[36:37]
	buffer_store_dword v112, off, s[60:63], 0 offset:168 ; 4-byte Folded Spill
	s_nop 0
	buffer_store_dword v113, off, s[60:63], 0 offset:172 ; 4-byte Folded Spill
	v_mul_f64 v[118:119], v[108:109], s[36:37]
	buffer_store_dword v118, off, s[60:63], 0 offset:176 ; 4-byte Folded Spill
	s_nop 0
	buffer_store_dword v119, off, s[60:63], 0 offset:180 ; 4-byte Folded Spill
	v_fma_f64 v[112:113], v[153:154], s[4:5], v[112:113]
	v_add_f64 v[4:5], v[112:113], v[4:5]
	v_fma_f64 v[112:113], v[155:156], s[4:5], -v[118:119]
	v_mul_f64 v[118:119], v[108:109], s[26:27]
	v_add_f64 v[6:7], v[112:113], v[6:7]
	v_mul_f64 v[112:113], v[110:111], s[26:27]
	buffer_store_dword v112, off, s[60:63], 0 offset:184 ; 4-byte Folded Spill
	s_nop 0
	buffer_store_dword v113, off, s[60:63], 0 offset:188 ; 4-byte Folded Spill
	buffer_store_dword v118, off, s[60:63], 0 offset:224 ; 4-byte Folded Spill
	s_nop 0
	buffer_store_dword v119, off, s[60:63], 0 offset:228 ; 4-byte Folded Spill
	v_fma_f64 v[112:113], v[153:154], s[22:23], v[112:113]
	v_add_f64 v[8:9], v[112:113], v[8:9]
	v_fma_f64 v[112:113], v[155:156], s[22:23], -v[118:119]
	v_mul_f64 v[118:119], v[108:109], s[42:43]
	v_add_f64 v[10:11], v[112:113], v[10:11]
	v_mul_f64 v[112:113], v[110:111], s[42:43]
	buffer_store_dword v112, off, s[60:63], 0 offset:232 ; 4-byte Folded Spill
	s_nop 0
	buffer_store_dword v113, off, s[60:63], 0 offset:236 ; 4-byte Folded Spill
	buffer_store_dword v118, off, s[60:63], 0 offset:240 ; 4-byte Folded Spill
	s_nop 0
	buffer_store_dword v119, off, s[60:63], 0 offset:244 ; 4-byte Folded Spill
	s_mov_b32 s43, 0x3fe58eea
	s_mov_b32 s42, s46
	v_fma_f64 v[112:113], v[153:154], s[18:19], v[112:113]
	v_add_f64 v[12:13], v[112:113], v[12:13]
	v_fma_f64 v[112:113], v[155:156], s[18:19], -v[118:119]
	v_mul_f64 v[118:119], v[108:109], s[48:49]
	v_add_f64 v[14:15], v[112:113], v[14:15]
	v_mul_f64 v[112:113], v[110:111], s[48:49]
	buffer_store_dword v112, off, s[60:63], 0 offset:256 ; 4-byte Folded Spill
	s_nop 0
	buffer_store_dword v113, off, s[60:63], 0 offset:260 ; 4-byte Folded Spill
	buffer_store_dword v118, off, s[60:63], 0 offset:272 ; 4-byte Folded Spill
	s_nop 0
	buffer_store_dword v119, off, s[60:63], 0 offset:276 ; 4-byte Folded Spill
	v_fma_f64 v[112:113], v[153:154], s[16:17], v[112:113]
	v_add_f64 v[16:17], v[112:113], v[16:17]
	v_fma_f64 v[112:113], v[155:156], s[16:17], -v[118:119]
	v_mul_f64 v[118:119], v[108:109], s[42:43]
	v_add_f64 v[18:19], v[112:113], v[18:19]
	v_mul_f64 v[112:113], v[110:111], s[42:43]
	buffer_store_dword v112, off, s[60:63], 0 offset:288 ; 4-byte Folded Spill
	s_nop 0
	buffer_store_dword v113, off, s[60:63], 0 offset:292 ; 4-byte Folded Spill
	buffer_store_dword v118, off, s[60:63], 0 offset:296 ; 4-byte Folded Spill
	s_nop 0
	buffer_store_dword v119, off, s[60:63], 0 offset:300 ; 4-byte Folded Spill
	;; [unrolled: 12-line block ×3, first 2 shown]
	v_fma_f64 v[112:113], v[153:154], s[2:3], v[112:113]
	v_add_f64 v[24:25], v[112:113], v[24:25]
	v_fma_f64 v[112:113], v[155:156], s[2:3], -v[118:119]
	v_add_f64 v[26:27], v[112:113], v[26:27]
	v_mul_f64 v[112:113], v[110:111], s[40:41]
	v_mul_f64 v[110:111], v[110:111], s[30:31]
	v_fma_f64 v[118:119], v[153:154], s[10:11], -v[112:113]
	v_fma_f64 v[112:113], v[153:154], s[10:11], v[112:113]
	v_add_f64 v[30:31], v[118:119], v[30:31]
	v_mul_f64 v[118:119], v[108:109], s[40:41]
	v_add_f64 v[28:29], v[112:113], v[28:29]
	v_mul_f64 v[108:109], v[108:109], s[30:31]
	v_fma_f64 v[112:113], v[155:156], s[10:11], -v[118:119]
	v_fma_f64 v[120:121], v[155:156], s[10:11], v[118:119]
	v_add_f64 v[32:33], v[112:113], v[32:33]
	v_fma_f64 v[112:113], v[153:154], s[14:15], -v[110:111]
	v_fma_f64 v[110:111], v[153:154], s[14:15], v[110:111]
	v_add_f64 v[34:35], v[120:121], v[34:35]
	v_add_f64 v[36:37], v[112:113], v[36:37]
	v_fma_f64 v[112:113], v[155:156], s[14:15], v[108:109]
	v_add_f64 v[2:3], v[110:111], v[2:3]
	v_fma_f64 v[108:109], v[155:156], s[14:15], -v[108:109]
	v_add_f64 v[110:111], v[102:103], -v[74:75]
	v_add_f64 v[38:39], v[112:113], v[38:39]
	v_add_f64 v[0:1], v[108:109], v[0:1]
	v_add_f64 v[108:109], v[100:101], -v[72:73]
	v_mul_f64 v[112:113], v[110:111], s[40:41]
	buffer_store_dword v112, off, s[60:63], 0 offset:248 ; 4-byte Folded Spill
	s_nop 0
	buffer_store_dword v113, off, s[60:63], 0 offset:252 ; 4-byte Folded Spill
	v_mul_f64 v[118:119], v[108:109], s[40:41]
	buffer_store_dword v118, off, s[60:63], 0 offset:264 ; 4-byte Folded Spill
	s_nop 0
	buffer_store_dword v119, off, s[60:63], 0 offset:268 ; 4-byte Folded Spill
	v_mul_f64 v[221:222], v[108:109], s[44:45]
	v_mul_f64 v[223:224], v[110:111], s[36:37]
	;; [unrolled: 1-line block ×5, first 2 shown]
	v_fma_f64 v[112:113], v[179:180], s[10:11], v[112:113]
	v_add_f64 v[4:5], v[112:113], v[4:5]
	v_fma_f64 v[112:113], v[181:182], s[10:11], -v[118:119]
	v_mul_f64 v[118:119], v[108:109], s[34:35]
	v_add_f64 v[6:7], v[112:113], v[6:7]
	v_mul_f64 v[112:113], v[110:111], s[34:35]
	buffer_store_dword v112, off, s[60:63], 0 offset:280 ; 4-byte Folded Spill
	s_nop 0
	buffer_store_dword v113, off, s[60:63], 0 offset:284 ; 4-byte Folded Spill
	buffer_store_dword v118, off, s[60:63], 0 offset:320 ; 4-byte Folded Spill
	s_nop 0
	buffer_store_dword v119, off, s[60:63], 0 offset:324 ; 4-byte Folded Spill
	v_fma_f64 v[112:113], v[179:180], s[18:19], v[112:113]
	v_add_f64 v[8:9], v[112:113], v[8:9]
	v_fma_f64 v[112:113], v[181:182], s[18:19], -v[118:119]
	v_mul_f64 v[118:119], v[108:109], s[48:49]
	v_add_f64 v[10:11], v[112:113], v[10:11]
	v_mul_f64 v[112:113], v[110:111], s[48:49]
	buffer_store_dword v112, off, s[60:63], 0 offset:328 ; 4-byte Folded Spill
	s_nop 0
	buffer_store_dword v113, off, s[60:63], 0 offset:332 ; 4-byte Folded Spill
	buffer_store_dword v118, off, s[60:63], 0 offset:344 ; 4-byte Folded Spill
	s_nop 0
	buffer_store_dword v119, off, s[60:63], 0 offset:348 ; 4-byte Folded Spill
	v_fma_f64 v[112:113], v[179:180], s[16:17], v[112:113]
	v_add_f64 v[12:13], v[112:113], v[12:13]
	v_fma_f64 v[112:113], v[181:182], s[16:17], -v[118:119]
	v_add_f64 v[14:15], v[112:113], v[14:15]
	v_mul_f64 v[112:113], v[110:111], s[44:45]
	buffer_store_dword v112, off, s[60:63], 0 offset:360 ; 4-byte Folded Spill
	s_nop 0
	buffer_store_dword v113, off, s[60:63], 0 offset:364 ; 4-byte Folded Spill
	v_fma_f64 v[112:113], v[179:180], s[2:3], v[112:113]
	v_add_f64 v[16:17], v[112:113], v[16:17]
	v_fma_f64 v[112:113], v[181:182], s[2:3], -v[221:222]
	v_add_f64 v[18:19], v[112:113], v[18:19]
	v_fma_f64 v[112:113], v[179:180], s[4:5], v[223:224]
	v_add_f64 v[20:21], v[112:113], v[20:21]
	v_fma_f64 v[112:113], v[181:182], s[4:5], -v[225:226]
	v_add_f64 v[22:23], v[112:113], v[22:23]
	;; [unrolled: 4-line block ×3, first 2 shown]
	v_mul_f64 v[112:113], v[110:111], s[52:53]
	v_mul_f64 v[110:111], v[110:111], s[42:43]
	v_fma_f64 v[118:119], v[179:180], s[22:23], -v[112:113]
	v_fma_f64 v[112:113], v[179:180], s[22:23], v[112:113]
	v_add_f64 v[30:31], v[118:119], v[30:31]
	v_mul_f64 v[118:119], v[108:109], s[52:53]
	v_add_f64 v[28:29], v[112:113], v[28:29]
	v_mul_f64 v[108:109], v[108:109], s[42:43]
	v_fma_f64 v[112:113], v[181:182], s[22:23], -v[118:119]
	v_fma_f64 v[120:121], v[181:182], s[22:23], v[118:119]
	v_add_f64 v[32:33], v[112:113], v[32:33]
	v_fma_f64 v[112:113], v[179:180], s[20:21], -v[110:111]
	v_add_f64 v[34:35], v[120:121], v[34:35]
	v_fma_f64 v[110:111], v[179:180], s[20:21], v[110:111]
	v_add_f64 v[120:121], v[106:107], -v[70:71]
	v_add_f64 v[36:37], v[112:113], v[36:37]
	v_fma_f64 v[112:113], v[181:182], s[20:21], v[108:109]
	v_fma_f64 v[108:109], v[181:182], s[20:21], -v[108:109]
	v_add_f64 v[2:3], v[110:111], v[2:3]
	v_add_f64 v[110:111], v[104:105], -v[68:69]
	v_mul_f64 v[219:220], v[120:121], s[50:51]
	v_mul_f64 v[237:238], v[120:121], s[42:43]
	;; [unrolled: 1-line block ×4, first 2 shown]
	v_add_f64 v[38:39], v[112:113], v[38:39]
	v_add_f64 v[0:1], v[108:109], v[0:1]
	v_mul_f64 v[108:109], v[120:121], s[24:25]
	v_mul_f64 v[112:113], v[110:111], s[24:25]
	buffer_store_dword v108, off, s[60:63], 0 offset:336 ; 4-byte Folded Spill
	s_nop 0
	buffer_store_dword v109, off, s[60:63], 0 offset:340 ; 4-byte Folded Spill
	buffer_store_dword v112, off, s[60:63], 0 offset:352 ; 4-byte Folded Spill
	s_nop 0
	buffer_store_dword v113, off, s[60:63], 0 offset:356 ; 4-byte Folded Spill
	v_mul_f64 v[227:228], v[110:111], s[50:51]
	v_mul_f64 v[239:240], v[110:111], s[42:43]
	;; [unrolled: 1-line block ×3, first 2 shown]
	s_mov_b32 s37, 0x3fefdd0d
	s_mov_b32 s36, s40
	v_mul_f64 v[118:119], v[110:111], s[36:37]
	s_waitcnt vmcnt(0)
	s_barrier
	v_fma_f64 v[108:109], v[207:208], s[16:17], v[108:109]
	v_add_f64 v[4:5], v[108:109], v[4:5]
	v_fma_f64 v[108:109], v[209:210], s[16:17], -v[112:113]
	v_fma_f64 v[112:113], v[207:208], s[18:19], v[251:252]
	v_add_f64 v[6:7], v[108:109], v[6:7]
	v_fma_f64 v[108:109], v[207:208], s[14:15], v[219:220]
	v_add_f64 v[20:21], v[112:113], v[20:21]
	v_add_f64 v[8:9], v[108:109], v[8:9]
	v_fma_f64 v[108:109], v[209:210], s[14:15], -v[227:228]
	v_add_f64 v[10:11], v[108:109], v[10:11]
	v_fma_f64 v[108:109], v[207:208], s[20:21], v[237:238]
	v_add_f64 v[12:13], v[108:109], v[12:13]
	v_fma_f64 v[108:109], v[209:210], s[20:21], -v[239:240]
	v_add_f64 v[14:15], v[108:109], v[14:15]
	v_fma_f64 v[108:109], v[207:208], s[4:5], v[245:246]
	v_add_f64 v[16:17], v[108:109], v[16:17]
	v_fma_f64 v[108:109], v[209:210], s[4:5], -v[249:250]
	v_add_f64 v[18:19], v[108:109], v[18:19]
	v_mul_f64 v[108:109], v[110:111], s[34:35]
	v_fma_f64 v[112:113], v[209:210], s[18:19], -v[108:109]
	v_add_f64 v[22:23], v[112:113], v[22:23]
	v_mul_f64 v[112:113], v[120:121], s[36:37]
	v_fma_f64 v[122:123], v[207:208], s[10:11], v[112:113]
	v_add_f64 v[24:25], v[122:123], v[24:25]
	v_fma_f64 v[122:123], v[209:210], s[10:11], -v[118:119]
	v_add_f64 v[26:27], v[122:123], v[26:27]
	v_mul_f64 v[122:123], v[120:121], s[38:39]
	v_mul_f64 v[120:121], v[120:121], s[26:27]
	v_fma_f64 v[129:130], v[207:208], s[2:3], -v[122:123]
	v_fma_f64 v[122:123], v[207:208], s[2:3], v[122:123]
	v_add_f64 v[30:31], v[129:130], v[30:31]
	v_mul_f64 v[129:130], v[110:111], s[38:39]
	v_add_f64 v[28:29], v[122:123], v[28:29]
	v_mul_f64 v[110:111], v[110:111], s[26:27]
	v_fma_f64 v[122:123], v[209:210], s[2:3], -v[129:130]
	v_fma_f64 v[131:132], v[209:210], s[2:3], v[129:130]
	v_add_f64 v[32:33], v[122:123], v[32:33]
	v_fma_f64 v[122:123], v[207:208], s[22:23], -v[120:121]
	v_fma_f64 v[120:121], v[207:208], s[22:23], v[120:121]
	v_add_f64 v[34:35], v[131:132], v[34:35]
	v_add_f64 v[36:37], v[122:123], v[36:37]
	v_fma_f64 v[122:123], v[209:210], s[22:23], v[110:111]
	v_add_f64 v[2:3], v[120:121], v[2:3]
	v_fma_f64 v[110:111], v[209:210], s[22:23], -v[110:111]
	v_add_f64 v[120:121], v[52:53], -v[64:65]
	v_add_f64 v[38:39], v[122:123], v[38:39]
	v_add_f64 v[122:123], v[54:55], -v[66:67]
	v_add_f64 v[0:1], v[110:111], v[0:1]
	v_mul_f64 v[243:244], v[120:121], s[26:27]
	v_mul_f64 v[143:144], v[120:121], s[30:31]
	;; [unrolled: 1-line block ×10, first 2 shown]
	v_fma_f64 v[110:111], v[233:234], s[22:23], v[241:242]
	v_fma_f64 v[129:130], v[233:234], s[16:17], v[247:248]
	;; [unrolled: 1-line block ×3, first 2 shown]
	v_add_f64 v[4:5], v[110:111], v[4:5]
	v_fma_f64 v[110:111], v[235:236], s[22:23], -v[243:244]
	v_add_f64 v[8:9], v[129:130], v[8:9]
	v_add_f64 v[12:13], v[131:132], v[12:13]
	;; [unrolled: 1-line block ×3, first 2 shown]
	v_mul_f64 v[110:111], v[120:121], s[48:49]
	v_fma_f64 v[129:130], v[235:236], s[16:17], -v[110:111]
	v_add_f64 v[10:11], v[129:130], v[10:11]
	v_mul_f64 v[129:130], v[120:121], s[38:39]
	v_fma_f64 v[131:132], v[235:236], s[2:3], -v[129:130]
	v_add_f64 v[14:15], v[131:132], v[14:15]
	v_fma_f64 v[131:132], v[233:234], s[14:15], v[137:138]
	v_add_f64 v[16:17], v[131:132], v[16:17]
	v_fma_f64 v[131:132], v[235:236], s[14:15], -v[143:144]
	v_add_f64 v[18:19], v[131:132], v[18:19]
	v_fma_f64 v[131:132], v[233:234], s[10:11], v[145:146]
	v_add_f64 v[20:21], v[131:132], v[20:21]
	;; [unrolled: 4-line block ×3, first 2 shown]
	v_fma_f64 v[131:132], v[235:236], s[20:21], -v[159:160]
	v_add_f64 v[26:27], v[131:132], v[26:27]
	v_mul_f64 v[131:132], v[122:123], s[34:35]
	v_mul_f64 v[122:123], v[122:123], s[28:29]
	v_fma_f64 v[133:134], v[233:234], s[18:19], -v[131:132]
	v_fma_f64 v[131:132], v[233:234], s[18:19], v[131:132]
	v_add_f64 v[30:31], v[133:134], v[30:31]
	v_mul_f64 v[133:134], v[120:121], s[34:35]
	v_add_f64 v[28:29], v[131:132], v[28:29]
	v_mul_f64 v[120:121], v[120:121], s[28:29]
	v_fma_f64 v[131:132], v[235:236], s[18:19], -v[133:134]
	v_fma_f64 v[135:136], v[235:236], s[18:19], v[133:134]
	v_mul_f64 v[133:134], v[151:152], s[30:31]
	v_add_f64 v[32:33], v[131:132], v[32:33]
	v_fma_f64 v[131:132], v[233:234], s[4:5], -v[122:123]
	v_fma_f64 v[122:123], v[233:234], s[4:5], v[122:123]
	v_add_f64 v[34:35], v[135:136], v[34:35]
	v_add_f64 v[36:37], v[131:132], v[36:37]
	v_fma_f64 v[131:132], v[235:236], s[4:5], v[120:121]
	v_fma_f64 v[120:121], v[235:236], s[4:5], -v[120:121]
	v_add_f64 v[2:3], v[122:123], v[2:3]
	v_add_f64 v[122:123], v[46:47], v[62:63]
	;; [unrolled: 1-line block ×5, first 2 shown]
	v_mul_f64 v[131:132], v[157:158], s[30:31]
	v_fma_f64 v[135:136], v[120:121], s[14:15], v[131:132]
	v_add_f64 v[4:5], v[135:136], v[4:5]
	v_fma_f64 v[135:136], v[122:123], s[14:15], -v[133:134]
	v_add_f64 v[6:7], v[135:136], v[6:7]
	v_mul_f64 v[135:136], v[157:158], s[28:29]
	v_fma_f64 v[141:142], v[120:121], s[4:5], v[135:136]
	v_add_f64 v[8:9], v[141:142], v[8:9]
	v_fma_f64 v[141:142], v[122:123], s[4:5], -v[139:140]
	v_add_f64 v[10:11], v[141:142], v[10:11]
	v_mul_f64 v[141:142], v[157:158], s[40:41]
	v_fma_f64 v[163:164], v[120:121], s[10:11], v[141:142]
	v_add_f64 v[191:192], v[163:164], v[12:13]
	v_fma_f64 v[12:13], v[122:123], s[10:11], -v[161:162]
	v_mul_f64 v[163:164], v[157:158], s[42:43]
	v_mul_f64 v[157:158], v[157:158], s[24:25]
	v_add_f64 v[195:196], v[12:13], v[14:15]
	v_fma_f64 v[12:13], v[120:121], s[22:23], v[167:168]
	v_fma_f64 v[14:15], v[122:123], s[22:23], -v[169:170]
	v_add_f64 v[12:13], v[12:13], v[16:17]
	v_fma_f64 v[16:17], v[120:121], s[2:3], v[171:172]
	v_add_f64 v[14:15], v[14:15], v[18:19]
	v_fma_f64 v[18:19], v[122:123], s[2:3], -v[173:174]
	v_add_f64 v[16:17], v[16:17], v[20:21]
	v_fma_f64 v[20:21], v[120:121], s[18:19], v[177:178]
	v_add_f64 v[18:19], v[18:19], v[22:23]
	v_fma_f64 v[22:23], v[122:123], s[18:19], -v[183:184]
	v_add_f64 v[20:21], v[20:21], v[24:25]
	v_fma_f64 v[24:25], v[120:121], s[20:21], -v[163:164]
	v_add_f64 v[22:23], v[22:23], v[26:27]
	v_add_f64 v[24:25], v[24:25], v[30:31]
	v_mul_f64 v[30:31], v[151:152], s[42:43]
	v_mul_f64 v[151:152], v[151:152], s[24:25]
	v_fma_f64 v[26:27], v[122:123], s[20:21], v[30:31]
	v_fma_f64 v[30:31], v[122:123], s[20:21], -v[30:31]
	v_add_f64 v[26:27], v[26:27], v[34:35]
	v_add_f64 v[30:31], v[30:31], v[32:33]
	v_fma_f64 v[32:33], v[120:121], s[16:17], -v[157:158]
	v_fma_f64 v[34:35], v[120:121], s[20:21], v[163:164]
	v_mul_f64 v[163:164], v[199:200], s[34:35]
	v_add_f64 v[32:33], v[32:33], v[36:37]
	v_fma_f64 v[36:37], v[120:121], s[16:17], v[157:158]
	v_add_f64 v[28:29], v[34:35], v[28:29]
	v_fma_f64 v[34:35], v[122:123], s[16:17], v[151:152]
	v_add_f64 v[157:158], v[50:51], v[58:59]
	v_add_f64 v[36:37], v[36:37], v[2:3]
	v_fma_f64 v[2:3], v[122:123], s[16:17], -v[151:152]
	v_add_f64 v[151:152], v[48:49], v[56:57]
	v_add_f64 v[34:35], v[34:35], v[38:39]
	;; [unrolled: 1-line block ×3, first 2 shown]
	v_fma_f64 v[0:1], v[151:152], s[18:19], v[163:164]
	v_fma_f64 v[2:3], v[157:158], s[18:19], -v[165:166]
	v_add_f64 v[0:1], v[0:1], v[4:5]
	v_fma_f64 v[4:5], v[151:152], s[2:3], v[175:176]
	v_add_f64 v[2:3], v[2:3], v[6:7]
	v_fma_f64 v[6:7], v[157:158], s[2:3], -v[185:186]
	v_add_f64 v[4:5], v[4:5], v[8:9]
	v_fma_f64 v[8:9], v[151:152], s[14:15], v[187:188]
	v_add_f64 v[6:7], v[6:7], v[10:11]
	v_fma_f64 v[10:11], v[157:158], s[14:15], -v[189:190]
	v_add_f64 v[8:9], v[8:9], v[191:192]
	v_mul_f64 v[191:192], v[199:200], s[42:43]
	v_add_f64 v[10:11], v[10:11], v[195:196]
	v_mul_f64 v[195:196], v[193:194], s[42:43]
	v_fma_f64 v[197:198], v[151:152], s[20:21], v[191:192]
	v_add_f64 v[12:13], v[197:198], v[12:13]
	v_fma_f64 v[197:198], v[157:158], s[20:21], -v[195:196]
	v_add_f64 v[14:15], v[197:198], v[14:15]
	v_mul_f64 v[197:198], v[199:200], s[26:27]
	v_fma_f64 v[203:204], v[151:152], s[22:23], v[197:198]
	v_add_f64 v[16:17], v[203:204], v[16:17]
	v_fma_f64 v[203:204], v[157:158], s[22:23], -v[201:202]
	;; [unrolled: 5-line block ×3, first 2 shown]
	v_add_f64 v[22:23], v[212:213], v[22:23]
	v_mul_f64 v[212:213], v[199:200], s[24:25]
	v_mul_f64 v[199:200], v[199:200], s[36:37]
	v_fma_f64 v[214:215], v[151:152], s[16:17], -v[212:213]
	v_fma_f64 v[212:213], v[151:152], s[16:17], v[212:213]
	v_add_f64 v[24:25], v[214:215], v[24:25]
	v_mul_f64 v[214:215], v[193:194], s[24:25]
	v_add_f64 v[28:29], v[212:213], v[28:29]
	v_mul_f64 v[193:194], v[193:194], s[36:37]
	v_fma_f64 v[212:213], v[157:158], s[16:17], -v[214:215]
	v_fma_f64 v[216:217], v[157:158], s[16:17], v[214:215]
	v_add_f64 v[30:31], v[212:213], v[30:31]
	v_fma_f64 v[212:213], v[151:152], s[10:11], -v[199:200]
	v_fma_f64 v[199:200], v[151:152], s[10:11], v[199:200]
	v_add_f64 v[26:27], v[216:217], v[26:27]
	v_add_f64 v[32:33], v[212:213], v[32:33]
	v_fma_f64 v[212:213], v[157:158], s[10:11], v[193:194]
	v_fma_f64 v[193:194], v[157:158], s[10:11], -v[193:194]
	v_add_f64 v[36:37], v[199:200], v[36:37]
	v_add_f64 v[34:35], v[212:213], v[34:35]
	;; [unrolled: 1-line block ×3, first 2 shown]
	v_mul_lo_u16_e32 v193, 17, v255
	s_and_saveexec_b64 s[24:25], vcc
	s_cbranch_execz .LBB0_7
; %bb.6:
	v_add_f64 v[88:89], v[88:89], v[40:41]
	v_add_f64 v[90:91], v[90:91], v[42:43]
	v_mul_f64 v[214:215], v[157:158], s[18:19]
	v_add_f64 v[88:89], v[92:93], v[88:89]
	v_add_f64 v[90:91], v[94:95], v[90:91]
	v_mul_f64 v[92:93], v[122:123], s[18:19]
	;; [unrolled: 3-line block ×3, first 2 shown]
	v_mul_f64 v[96:97], v[235:236], s[20:21]
	v_add_f64 v[92:93], v[183:184], v[92:93]
	v_add_f64 v[88:89], v[100:101], v[88:89]
	;; [unrolled: 1-line block ×4, first 2 shown]
	v_mul_f64 v[102:103], v[155:156], s[2:3]
	v_add_f64 v[96:97], v[159:160], v[96:97]
	v_mul_f64 v[100:101], v[181:182], s[14:15]
	v_add_f64 v[94:95], v[104:105], v[88:89]
	buffer_load_dword v104, off, s[60:63], 0 offset:312 ; 4-byte Folded Reload
	buffer_load_dword v105, off, s[60:63], 0 offset:316 ; 4-byte Folded Reload
	v_add_f64 v[90:91], v[106:107], v[90:91]
	buffer_load_dword v106, off, s[60:63], 0 offset:216 ; 4-byte Folded Reload
	buffer_load_dword v107, off, s[60:63], 0 offset:220 ; 4-byte Folded Reload
	;; [unrolled: 1-line block ×6, first 2 shown]
	v_add_f64 v[100:101], v[231:232], v[100:101]
	v_mul_f64 v[88:89], v[157:158], s[4:5]
	v_add_f64 v[52:53], v[52:53], v[94:95]
	v_add_f64 v[54:55], v[90:91], v[54:55]
	;; [unrolled: 1-line block ×20, first 2 shown]
	s_waitcnt vmcnt(6)
	v_add_f64 v[102:103], v[104:105], v[102:103]
	v_mul_f64 v[104:105], v[126:127], s[16:17]
	v_add_f64 v[66:67], v[46:47], v[82:83]
	s_waitcnt vmcnt(4)
	v_add_f64 v[104:105], v[106:107], v[104:105]
	v_mul_f64 v[106:107], v[116:117], s[22:23]
	s_waitcnt vmcnt(2)
	v_add_f64 v[106:107], v[118:119], v[106:107]
	v_mul_f64 v[118:119], v[151:152], s[4:5]
	v_add_f64 v[106:107], v[42:43], v[106:107]
	v_add_f64 v[118:119], v[118:119], -v[203:204]
	v_add_f64 v[104:105], v[104:105], v[106:107]
	v_mul_f64 v[106:107], v[120:121], s[18:19]
	v_add_f64 v[102:103], v[102:103], v[104:105]
	v_add_f64 v[106:107], v[106:107], -v[177:178]
	buffer_load_dword v177, off, s[60:63], 0 offset:112 ; 4-byte Folded Reload
	buffer_load_dword v178, off, s[60:63], 0 offset:116 ; 4-byte Folded Reload
	;; [unrolled: 1-line block ×4, first 2 shown]
	v_mul_f64 v[104:105], v[153:154], s[2:3]
	v_add_f64 v[100:101], v[100:101], v[102:103]
	s_waitcnt vmcnt(4)
	v_add_f64 v[104:105], v[104:105], -v[159:160]
	v_mul_f64 v[159:160], v[114:115], s[22:23]
	v_add_f64 v[98:99], v[98:99], v[100:101]
	v_mul_f64 v[100:101], v[233:234], s[20:21]
	v_add_f64 v[96:97], v[96:97], v[98:99]
	v_add_f64 v[100:101], v[100:101], -v[149:150]
	v_add_f64 v[92:93], v[92:93], v[96:97]
	v_mul_f64 v[96:97], v[181:182], s[4:5]
	v_add_f64 v[88:89], v[88:89], v[92:93]
	v_add_f64 v[96:97], v[225:226], v[96:97]
	s_waitcnt vmcnt(2)
	v_add_f64 v[159:160], v[159:160], -v[177:178]
	v_mul_f64 v[177:178], v[124:125], s[16:17]
	v_add_f64 v[102:103], v[40:41], v[159:160]
	s_waitcnt vmcnt(0)
	v_add_f64 v[177:178], v[177:178], -v[183:184]
	v_mul_f64 v[159:160], v[179:180], s[14:15]
	v_add_f64 v[102:103], v[177:178], v[102:103]
	v_add_f64 v[159:160], v[159:160], -v[229:230]
	v_add_f64 v[102:103], v[104:105], v[102:103]
	v_mul_f64 v[104:105], v[207:208], s[10:11]
	v_add_f64 v[102:103], v[159:160], v[102:103]
	v_add_f64 v[104:105], v[104:105], -v[112:113]
	buffer_load_dword v112, off, s[60:63], 0 offset:296 ; 4-byte Folded Reload
	buffer_load_dword v113, off, s[60:63], 0 offset:300 ; 4-byte Folded Reload
	v_add_f64 v[102:103], v[104:105], v[102:103]
	v_mul_f64 v[104:105], v[155:156], s[20:21]
	v_add_f64 v[98:99], v[100:101], v[102:103]
	buffer_load_dword v102, off, s[60:63], 0 offset:80 ; 4-byte Folded Reload
	buffer_load_dword v103, off, s[60:63], 0 offset:84 ; 4-byte Folded Reload
	v_mul_f64 v[100:101], v[116:117], s[16:17]
	v_add_f64 v[98:99], v[106:107], v[98:99]
	s_waitcnt vmcnt(2)
	v_add_f64 v[104:105], v[112:113], v[104:105]
	buffer_load_dword v112, off, s[60:63], 0 offset:200 ; 4-byte Folded Reload
	buffer_load_dword v113, off, s[60:63], 0 offset:204 ; 4-byte Folded Reload
	s_waitcnt vmcnt(2)
	v_add_f64 v[100:101], v[102:103], v[100:101]
	v_mul_f64 v[102:103], v[126:127], s[14:15]
	v_add_f64 v[100:101], v[42:43], v[100:101]
	s_waitcnt vmcnt(0)
	v_add_f64 v[102:103], v[112:113], v[102:103]
	v_add_f64 v[100:101], v[102:103], v[100:101]
	v_mul_f64 v[102:103], v[209:210], s[18:19]
	v_add_f64 v[100:101], v[104:105], v[100:101]
	buffer_load_dword v104, off, s[60:63], 0 offset:288 ; 4-byte Folded Reload
	buffer_load_dword v105, off, s[60:63], 0 offset:292 ; 4-byte Folded Reload
	;; [unrolled: 1-line block ×4, first 2 shown]
	v_add_f64 v[102:103], v[108:109], v[102:103]
	buffer_load_dword v108, off, s[60:63], 0 offset:192 ; 4-byte Folded Reload
	buffer_load_dword v109, off, s[60:63], 0 offset:196 ; 4-byte Folded Reload
	v_add_f64 v[96:97], v[96:97], v[100:101]
	v_mul_f64 v[100:101], v[235:236], s[10:11]
	v_add_f64 v[96:97], v[102:103], v[96:97]
	v_add_f64 v[100:101], v[147:148], v[100:101]
	v_mul_f64 v[102:103], v[122:123], s[2:3]
	v_add_f64 v[96:97], v[100:101], v[96:97]
	v_add_f64 v[102:103], v[173:174], v[102:103]
	v_mul_f64 v[173:174], v[153:154], s[4:5]
	v_mul_f64 v[100:101], v[157:158], s[22:23]
	v_add_f64 v[96:97], v[102:103], v[96:97]
	v_mul_f64 v[102:103], v[153:154], s[20:21]
	v_add_f64 v[100:101], v[201:202], v[100:101]
	v_mul_f64 v[200:201], v[207:208], s[14:15]
	v_mul_f64 v[202:203], v[209:210], s[14:15]
	v_add_f64 v[92:93], v[100:101], v[96:97]
	v_add_f64 v[202:203], v[227:228], v[202:203]
	s_waitcnt vmcnt(4)
	v_add_f64 v[102:103], v[102:103], -v[104:105]
	v_mul_f64 v[104:105], v[114:115], s[16:17]
	s_waitcnt vmcnt(2)
	v_add_f64 v[104:105], v[104:105], -v[106:107]
	v_mul_f64 v[106:107], v[124:125], s[14:15]
	v_add_f64 v[104:105], v[40:41], v[104:105]
	s_waitcnt vmcnt(0)
	v_add_f64 v[106:107], v[106:107], -v[108:109]
	buffer_load_dword v108, off, s[60:63], 0 offset:272 ; 4-byte Folded Reload
	buffer_load_dword v109, off, s[60:63], 0 offset:276 ; 4-byte Folded Reload
	;; [unrolled: 1-line block ×4, first 2 shown]
	v_add_f64 v[104:105], v[106:107], v[104:105]
	v_mul_f64 v[106:107], v[179:180], s[4:5]
	v_add_f64 v[102:103], v[102:103], v[104:105]
	v_add_f64 v[106:107], v[106:107], -v[223:224]
	v_mul_f64 v[104:105], v[207:208], s[18:19]
	v_add_f64 v[102:103], v[106:107], v[102:103]
	v_mul_f64 v[106:107], v[233:234], s[10:11]
	v_add_f64 v[104:105], v[104:105], -v[251:252]
	v_add_f64 v[106:107], v[106:107], -v[145:146]
	buffer_load_dword v145, off, s[60:63], 0 offset:160 ; 4-byte Folded Reload
	buffer_load_dword v146, off, s[60:63], 0 offset:164 ; 4-byte Folded Reload
	v_add_f64 v[102:103], v[104:105], v[102:103]
	v_mul_f64 v[104:105], v[120:121], s[2:3]
	v_add_f64 v[102:103], v[106:107], v[102:103]
	v_add_f64 v[104:105], v[104:105], -v[171:172]
	v_mul_f64 v[106:107], v[151:152], s[22:23]
	v_mul_f64 v[171:172], v[207:208], s[20:21]
	v_add_f64 v[102:103], v[104:105], v[102:103]
	v_mul_f64 v[104:105], v[155:156], s[16:17]
	v_add_f64 v[106:107], v[106:107], -v[197:198]
	v_add_f64 v[171:172], v[171:172], -v[237:238]
	s_waitcnt vmcnt(4)
	v_add_f64 v[104:105], v[108:109], v[104:105]
	v_mul_f64 v[108:109], v[116:117], s[10:11]
	s_waitcnt vmcnt(2)
	v_add_f64 v[108:109], v[112:113], v[108:109]
	v_mul_f64 v[112:113], v[126:127], s[18:19]
	v_add_f64 v[108:109], v[42:43], v[108:109]
	s_waitcnt vmcnt(0)
	v_add_f64 v[112:113], v[145:146], v[112:113]
	v_add_f64 v[108:109], v[112:113], v[108:109]
	v_mul_f64 v[112:113], v[181:182], s[2:3]
	v_add_f64 v[104:105], v[104:105], v[108:109]
	v_add_f64 v[112:113], v[221:222], v[112:113]
	v_mul_f64 v[108:109], v[209:210], s[4:5]
	v_add_f64 v[104:105], v[112:113], v[104:105]
	v_mul_f64 v[112:113], v[235:236], s[14:15]
	v_add_f64 v[108:109], v[249:250], v[108:109]
	v_add_f64 v[112:113], v[143:144], v[112:113]
	buffer_load_dword v143, off, s[60:63], 0 offset:256 ; 4-byte Folded Reload
	buffer_load_dword v144, off, s[60:63], 0 offset:260 ; 4-byte Folded Reload
	;; [unrolled: 1-line block ×6, first 2 shown]
	v_add_f64 v[104:105], v[108:109], v[104:105]
	v_mul_f64 v[108:109], v[122:123], s[22:23]
	v_add_f64 v[104:105], v[112:113], v[104:105]
	v_add_f64 v[108:109], v[169:170], v[108:109]
	v_mul_f64 v[112:113], v[157:158], s[20:21]
	v_mul_f64 v[169:170], v[116:117], s[2:3]
	v_add_f64 v[104:105], v[108:109], v[104:105]
	v_mul_f64 v[108:109], v[233:234], s[14:15]
	v_add_f64 v[112:113], v[195:196], v[112:113]
	v_add_f64 v[108:109], v[108:109], -v[137:138]
	v_mul_f64 v[137:138], v[153:154], s[16:17]
	v_add_f64 v[96:97], v[112:113], v[104:105]
	s_waitcnt vmcnt(4)
	v_add_f64 v[137:138], v[137:138], -v[143:144]
	v_mul_f64 v[143:144], v[114:115], s[10:11]
	s_waitcnt vmcnt(2)
	v_add_f64 v[143:144], v[143:144], -v[145:146]
	v_mul_f64 v[145:146], v[124:125], s[18:19]
	v_add_f64 v[143:144], v[40:41], v[143:144]
	s_waitcnt vmcnt(0)
	v_add_f64 v[145:146], v[145:146], -v[147:148]
	buffer_load_dword v147, off, s[60:63], 0 offset:360 ; 4-byte Folded Reload
	buffer_load_dword v148, off, s[60:63], 0 offset:364 ; 4-byte Folded Reload
	v_add_f64 v[143:144], v[145:146], v[143:144]
	v_mul_f64 v[145:146], v[179:180], s[2:3]
	v_add_f64 v[137:138], v[137:138], v[143:144]
	v_mul_f64 v[143:144], v[207:208], s[4:5]
	v_add_f64 v[143:144], v[143:144], -v[245:246]
	s_waitcnt vmcnt(0)
	v_add_f64 v[145:146], v[145:146], -v[147:148]
	buffer_load_dword v147, off, s[60:63], 0 offset:240 ; 4-byte Folded Reload
	buffer_load_dword v148, off, s[60:63], 0 offset:244 ; 4-byte Folded Reload
	buffer_load_dword v149, off, s[60:63], 0 offset:48 ; 4-byte Folded Reload
	buffer_load_dword v150, off, s[60:63], 0 offset:52 ; 4-byte Folded Reload
	buffer_load_dword v159, off, s[60:63], 0 offset:144 ; 4-byte Folded Reload
	buffer_load_dword v160, off, s[60:63], 0 offset:148 ; 4-byte Folded Reload
	v_add_f64 v[137:138], v[145:146], v[137:138]
	v_mul_f64 v[145:146], v[155:156], s[18:19]
	v_add_f64 v[137:138], v[143:144], v[137:138]
	v_mul_f64 v[143:144], v[114:115], s[2:3]
	;; [unrolled: 2-line block ×3, first 2 shown]
	v_mul_f64 v[114:115], v[114:115], s[4:5]
	s_waitcnt vmcnt(4)
	v_add_f64 v[145:146], v[147:148], v[145:146]
	v_mul_f64 v[147:148], v[116:117], s[4:5]
	v_mul_f64 v[116:117], v[116:117], s[20:21]
	s_waitcnt vmcnt(2)
	v_add_f64 v[147:148], v[149:150], v[147:148]
	v_mul_f64 v[149:150], v[126:127], s[22:23]
	v_add_f64 v[147:148], v[42:43], v[147:148]
	s_waitcnt vmcnt(0)
	v_add_f64 v[149:150], v[159:160], v[149:150]
	buffer_load_dword v159, off, s[60:63], 0 offset:344 ; 4-byte Folded Reload
	buffer_load_dword v160, off, s[60:63], 0 offset:348 ; 4-byte Folded Reload
	;; [unrolled: 1-line block ×6, first 2 shown]
	v_add_f64 v[147:148], v[149:150], v[147:148]
	v_mul_f64 v[149:150], v[181:182], s[16:17]
	v_add_f64 v[145:146], v[145:146], v[147:148]
	v_mul_f64 v[147:148], v[209:210], s[20:21]
	v_add_f64 v[147:148], v[239:240], v[147:148]
	s_waitcnt vmcnt(4)
	v_add_f64 v[149:150], v[159:160], v[149:150]
	v_mul_f64 v[159:160], v[120:121], s[22:23]
	s_waitcnt vmcnt(0)
	v_add_f64 v[114:115], v[114:115], -v[183:184]
	v_mul_f64 v[183:184], v[153:154], s[22:23]
	v_mul_f64 v[153:154], v[153:154], s[18:19]
	v_add_f64 v[145:146], v[149:150], v[145:146]
	v_mul_f64 v[149:150], v[151:152], s[20:21]
	v_add_f64 v[159:160], v[159:160], -v[167:168]
	v_mul_f64 v[167:168], v[235:236], s[2:3]
	v_add_f64 v[114:115], v[40:41], v[114:115]
	v_add_f64 v[145:146], v[147:148], v[145:146]
	v_add_f64 v[149:150], v[149:150], -v[191:192]
	buffer_load_dword v191, off, s[60:63], 0 offset:136 ; 4-byte Folded Reload
	buffer_load_dword v192, off, s[60:63], 0 offset:140 ; 4-byte Folded Reload
	;; [unrolled: 1-line block ×8, first 2 shown]
	v_add_f64 v[129:130], v[129:130], v[167:168]
	v_mul_f64 v[147:148], v[124:125], s[20:21]
	buffer_load_dword v204, off, s[60:63], 0 offset:224 ; 4-byte Folded Reload
	buffer_load_dword v205, off, s[60:63], 0 offset:228 ; 4-byte Folded Reload
	v_mul_f64 v[167:168], v[122:123], s[10:11]
	v_add_f64 v[108:109], v[159:160], v[108:109]
	v_mul_f64 v[159:160], v[179:180], s[16:17]
	buffer_load_dword v212, off, s[60:63], 0 offset:320 ; 4-byte Folded Reload
	buffer_load_dword v213, off, s[60:63], 0 offset:324 ; 4-byte Folded Reload
	v_add_f64 v[129:130], v[129:130], v[145:146]
	v_mul_f64 v[145:146], v[124:125], s[10:11]
	v_mul_f64 v[124:125], v[124:125], s[22:23]
	v_add_f64 v[161:162], v[161:162], v[167:168]
	v_mul_f64 v[167:168], v[126:127], s[20:21]
	v_mul_f64 v[126:127], v[126:127], s[10:11]
	v_add_f64 v[159:160], v[159:160], -v[177:178]
	v_mul_f64 v[177:178], v[155:156], s[4:5]
	v_mul_f64 v[155:156], v[155:156], s[22:23]
	v_add_f64 v[112:113], v[161:162], v[129:130]
	s_waitcnt vmcnt(10)
	v_add_f64 v[124:125], v[124:125], -v[191:192]
	s_waitcnt vmcnt(8)
	v_add_f64 v[116:117], v[194:195], v[116:117]
	s_waitcnt vmcnt(6)
	v_add_f64 v[153:154], v[153:154], -v[196:197]
	v_mul_f64 v[196:197], v[207:208], s[16:17]
	s_waitcnt vmcnt(4)
	v_add_f64 v[126:127], v[198:199], v[126:127]
	v_mul_f64 v[198:199], v[209:210], s[16:17]
	v_mul_f64 v[208:209], v[233:234], s[2:3]
	;; [unrolled: 1-line block ×3, first 2 shown]
	v_add_f64 v[114:115], v[124:125], v[114:115]
	v_add_f64 v[116:117], v[42:43], v[116:117]
	v_mul_f64 v[181:182], v[181:182], s[18:19]
	s_waitcnt vmcnt(2)
	v_add_f64 v[155:156], v[204:205], v[155:156]
	v_mul_f64 v[206:207], v[235:236], s[16:17]
	v_mul_f64 v[191:192], v[179:180], s[10:11]
	v_add_f64 v[94:95], v[208:209], -v[253:254]
	v_mul_f64 v[179:180], v[179:180], s[18:19]
	v_add_f64 v[114:115], v[153:154], v[114:115]
	v_add_f64 v[116:117], v[126:127], v[116:117]
	s_waitcnt vmcnt(0)
	v_add_f64 v[181:182], v[212:213], v[181:182]
	v_mul_f64 v[212:213], v[122:123], s[14:15]
	v_mul_f64 v[122:123], v[122:123], s[4:5]
	v_add_f64 v[110:111], v[110:111], v[206:207]
	v_mul_f64 v[124:125], v[233:234], s[22:23]
	v_mul_f64 v[204:205], v[235:236], s[22:23]
	v_add_f64 v[114:115], v[159:160], v[114:115]
	v_add_f64 v[116:117], v[155:156], v[116:117]
	v_mul_f64 v[126:127], v[233:234], s[16:17]
	v_mul_f64 v[153:154], v[120:121], s[14:15]
	;; [unrolled: 1-line block ×6, first 2 shown]
	v_add_f64 v[104:105], v[171:172], v[114:115]
	v_add_f64 v[116:117], v[181:182], v[116:117]
	;; [unrolled: 1-line block ×3, first 2 shown]
	v_mul_f64 v[181:182], v[151:152], s[2:3]
	v_mul_f64 v[157:158], v[157:158], s[14:15]
	;; [unrolled: 1-line block ×3, first 2 shown]
	v_add_f64 v[52:53], v[120:121], -v[141:142]
	v_add_f64 v[64:65], v[159:160], -v[163:164]
	v_add_f64 v[54:55], v[94:95], v[104:105]
	buffer_load_dword v104, off, s[60:63], 0 offset:16 ; 4-byte Folded Reload
	buffer_load_dword v105, off, s[60:63], 0 offset:20 ; 4-byte Folded Reload
	;; [unrolled: 1-line block ×6, first 2 shown]
	v_add_f64 v[100:101], v[202:203], v[116:117]
	v_add_f64 v[94:95], v[185:186], v[206:207]
	;; [unrolled: 1-line block ×4, first 2 shown]
	v_add_f64 v[110:111], v[151:152], -v[187:188]
	v_add_f64 v[100:101], v[114:115], v[100:101]
	buffer_load_dword v114, off, s[60:63], 0 offset:104 ; 4-byte Folded Reload
	buffer_load_dword v115, off, s[60:63], 0 offset:108 ; 4-byte Folded Reload
	buffer_load_dword v116, off, s[60:63], 0 offset:96 ; 4-byte Folded Reload
	buffer_load_dword v117, off, s[60:63], 0 offset:100 ; 4-byte Folded Reload
	v_add_f64 v[46:47], v[94:95], v[100:101]
	v_add_f64 v[94:95], v[149:150], v[108:109]
	s_waitcnt vmcnt(8)
	v_add_f64 v[104:105], v[104:105], v[169:170]
	s_waitcnt vmcnt(6)
	v_add_f64 v[48:49], v[143:144], -v[48:49]
	s_waitcnt vmcnt(4)
	v_add_f64 v[50:51], v[137:138], -v[50:51]
	v_add_f64 v[42:43], v[42:43], v[104:105]
	buffer_load_dword v104, off, s[60:63], 0 offset:88 ; 4-byte Folded Reload
	buffer_load_dword v105, off, s[60:63], 0 offset:92 ; 4-byte Folded Reload
	v_add_f64 v[48:49], v[40:41], v[48:49]
	v_add_f64 v[40:41], v[40:41], v[50:51]
	buffer_load_dword v50, off, s[60:63], 0 offset:184 ; 4-byte Folded Reload
	buffer_load_dword v51, off, s[60:63], 0 offset:188 ; 4-byte Folded Reload
	;; [unrolled: 1-line block ×10, first 2 shown]
	s_waitcnt vmcnt(14)
	v_add_f64 v[114:115], v[145:146], -v[114:115]
	s_waitcnt vmcnt(12)
	v_add_f64 v[116:117], v[116:117], v[167:168]
	v_add_f64 v[40:41], v[114:115], v[40:41]
	;; [unrolled: 1-line block ×3, first 2 shown]
	s_waitcnt vmcnt(10)
	v_add_f64 v[104:105], v[147:148], -v[104:105]
	s_waitcnt vmcnt(8)
	v_add_f64 v[50:51], v[183:184], -v[50:51]
	s_waitcnt vmcnt(6)
	v_add_f64 v[56:57], v[56:57], v[177:178]
	s_waitcnt vmcnt(4)
	v_add_f64 v[58:59], v[173:174], -v[58:59]
	s_waitcnt vmcnt(2)
	v_add_f64 v[60:61], v[179:180], -v[60:61]
	s_waitcnt vmcnt(0)
	v_add_f64 v[62:63], v[62:63], v[194:195]
	v_add_f64 v[48:49], v[104:105], v[48:49]
	;; [unrolled: 1-line block ×4, first 2 shown]
	buffer_load_dword v56, off, s[60:63], 0 offset:248 ; 4-byte Folded Reload
	buffer_load_dword v57, off, s[60:63], 0 offset:252 ; 4-byte Folded Reload
	v_add_f64 v[50:51], v[200:201], -v[219:220]
	v_add_f64 v[48:49], v[58:59], v[48:49]
	buffer_load_dword v58, off, s[60:63], 0 offset:352 ; 4-byte Folded Reload
	buffer_load_dword v59, off, s[60:63], 0 offset:356 ; 4-byte Folded Reload
	v_add_f64 v[40:41], v[60:61], v[40:41]
	v_add_f64 v[42:43], v[62:63], v[42:43]
	buffer_load_dword v62, off, s[60:63], 0 offset:336 ; 4-byte Folded Reload
	buffer_load_dword v63, off, s[60:63], 0 offset:340 ; 4-byte Folded Reload
	v_add_f64 v[60:61], v[243:244], v[204:205]
	v_add_f64 v[40:41], v[50:51], v[40:41]
	v_add_f64 v[50:51], v[155:156], -v[135:136]
	s_waitcnt vmcnt(4)
	v_add_f64 v[56:57], v[191:192], -v[56:57]
	s_waitcnt vmcnt(2)
	v_add_f64 v[58:59], v[58:59], v[198:199]
	s_waitcnt vmcnt(0)
	v_add_f64 v[62:63], v[196:197], -v[62:63]
	v_add_f64 v[48:49], v[56:57], v[48:49]
	v_add_f64 v[56:57], v[126:127], -v[247:248]
	v_add_f64 v[42:43], v[58:59], v[42:43]
	;; [unrolled: 2-line block ×3, first 2 shown]
	v_add_f64 v[62:63], v[133:134], v[212:213]
	v_add_f64 v[40:41], v[56:57], v[40:41]
	;; [unrolled: 1-line block ×3, first 2 shown]
	v_add_f64 v[60:61], v[153:154], -v[131:132]
	v_add_f64 v[56:57], v[181:182], -v[175:176]
	v_add_f64 v[48:49], v[58:59], v[48:49]
	v_add_f64 v[58:59], v[165:166], v[214:215]
	;; [unrolled: 1-line block ×13, first 2 shown]
	v_add_lshl_u32 v56, v218, v193, 4
	v_add_f64 v[48:49], v[64:65], v[48:49]
	v_add_f64 v[40:41], v[110:111], v[60:61]
	ds_write_b128 v56, v[52:55]
	ds_write_b128 v56, v[48:51] offset:16
	ds_write_b128 v56, v[44:47] offset:32
	ds_write_b128 v56, v[40:43] offset:48
	ds_write_b128 v56, v[94:97] offset:64
	ds_write_b128 v56, v[90:93] offset:80
	ds_write_b128 v56, v[86:89] offset:96
	ds_write_b128 v56, v[24:27] offset:112
	ds_write_b128 v56, v[32:35] offset:128
	ds_write_b128 v56, v[36:39] offset:144
	ds_write_b128 v56, v[28:31] offset:160
	ds_write_b128 v56, v[20:23] offset:176
	ds_write_b128 v56, v[16:19] offset:192
	ds_write_b128 v56, v[12:15] offset:208
	ds_write_b128 v56, v[8:11] offset:224
	ds_write_b128 v56, v[4:7] offset:240
	ds_write_b128 v56, v[0:3] offset:256
.LBB0_7:
	s_or_b64 exec, exec, s[24:25]
	v_mul_u32_u24_e32 v40, 6, v255
	v_lshlrev_b32_e32 v64, 4, v40
	s_load_dwordx4 s[0:3], s[0:1], 0x0
	s_waitcnt lgkmcnt(0)
	s_barrier
	global_load_dwordx4 v[52:55], v64, s[8:9]
	global_load_dwordx4 v[48:51], v64, s[8:9] offset:16
	global_load_dwordx4 v[44:47], v64, s[8:9] offset:32
	;; [unrolled: 1-line block ×5, first 2 shown]
	v_add_lshl_u32 v195, v218, v255, 4
	ds_read_b128 v[64:67], v195
	ds_read_b128 v[68:71], v195 offset:272
	ds_read_b128 v[72:75], v195 offset:544
	;; [unrolled: 1-line block ×6, first 2 shown]
	s_mov_b32 s8, 0x37e14327
	s_mov_b32 s4, 0x36b3c0b5
	;; [unrolled: 1-line block ×16, first 2 shown]
	s_waitcnt vmcnt(5) lgkmcnt(5)
	v_mul_f64 v[92:93], v[70:71], v[54:55]
	s_waitcnt vmcnt(4) lgkmcnt(4)
	v_mul_f64 v[96:97], v[74:75], v[50:51]
	v_mul_f64 v[94:95], v[68:69], v[54:55]
	;; [unrolled: 1-line block ×3, first 2 shown]
	s_waitcnt vmcnt(1) lgkmcnt(0)
	v_mul_f64 v[108:109], v[90:91], v[58:59]
	s_waitcnt vmcnt(0)
	v_mul_f64 v[112:113], v[86:87], v[62:63]
	v_mul_f64 v[100:101], v[78:79], v[46:47]
	;; [unrolled: 1-line block ×7, first 2 shown]
	v_fma_f64 v[68:69], v[68:69], v[52:53], -v[92:93]
	v_fma_f64 v[72:73], v[72:73], v[48:49], -v[96:97]
	;; [unrolled: 1-line block ×4, first 2 shown]
	v_fma_f64 v[70:71], v[70:71], v[52:53], v[94:95]
	v_fma_f64 v[74:75], v[74:75], v[48:49], v[98:99]
	;; [unrolled: 1-line block ×3, first 2 shown]
	v_fma_f64 v[76:77], v[76:77], v[44:45], -v[100:101]
	v_fma_f64 v[78:79], v[78:79], v[44:45], v[102:103]
	v_fma_f64 v[86:87], v[86:87], v[60:61], v[114:115]
	v_fma_f64 v[80:81], v[80:81], v[40:41], -v[104:105]
	v_fma_f64 v[82:83], v[82:83], v[40:41], v[106:107]
	v_add_f64 v[92:93], v[68:69], v[88:89]
	v_add_f64 v[68:69], v[68:69], -v[88:89]
	v_add_f64 v[88:89], v[72:73], v[84:85]
	v_add_f64 v[94:95], v[70:71], v[90:91]
	v_add_f64 v[70:71], v[70:71], -v[90:91]
	v_add_f64 v[90:91], v[74:75], v[86:87]
	v_add_f64 v[72:73], v[72:73], -v[84:85]
	v_add_f64 v[74:75], v[74:75], -v[86:87]
	v_add_f64 v[84:85], v[76:77], v[80:81]
	v_add_f64 v[86:87], v[78:79], v[82:83]
	v_add_f64 v[76:77], v[80:81], -v[76:77]
	v_add_f64 v[80:81], v[88:89], v[92:93]
	v_add_f64 v[78:79], v[82:83], -v[78:79]
	;; [unrolled: 2-line block ×3, first 2 shown]
	v_add_f64 v[98:99], v[90:91], -v[94:95]
	v_add_f64 v[92:93], v[92:93], -v[84:85]
	;; [unrolled: 1-line block ×5, first 2 shown]
	v_add_f64 v[80:81], v[84:85], v[80:81]
	v_add_f64 v[82:83], v[86:87], v[82:83]
	;; [unrolled: 1-line block ×4, first 2 shown]
	v_mul_f64 v[84:85], v[92:93], s[8:9]
	v_mul_f64 v[86:87], v[94:95], s[8:9]
	;; [unrolled: 1-line block ×4, first 2 shown]
	v_add_f64 v[64:65], v[64:65], v[80:81]
	v_add_f64 v[104:105], v[76:77], -v[72:73]
	v_add_f64 v[106:107], v[78:79], -v[74:75]
	;; [unrolled: 1-line block ×3, first 2 shown]
	v_fma_f64 v[88:89], v[88:89], s[4:5], v[84:85]
	v_add_f64 v[74:75], v[74:75], -v[70:71]
	v_fma_f64 v[92:93], v[96:97], s[18:19], -v[92:93]
	v_fma_f64 v[94:95], v[98:99], s[18:19], -v[94:95]
	s_mov_b32 s19, 0xbfe77f67
	v_fma_f64 v[84:85], v[96:97], s[18:19], -v[84:85]
	v_fma_f64 v[80:81], v[80:81], s[14:15], v[64:65]
	v_add_f64 v[76:77], v[68:69], -v[76:77]
	v_add_f64 v[78:79], v[70:71], -v[78:79]
	v_add_f64 v[68:69], v[100:101], v[68:69]
	v_add_f64 v[70:71], v[102:103], v[70:71]
	v_mul_f64 v[100:101], v[104:105], s[16:17]
	v_mul_f64 v[102:103], v[106:107], s[16:17]
	;; [unrolled: 1-line block ×3, first 2 shown]
	v_add_f64 v[88:89], v[88:89], v[80:81]
	v_add_f64 v[84:85], v[84:85], v[80:81]
	;; [unrolled: 1-line block ×3, first 2 shown]
	buffer_load_dword v92, off, s[60:63], 0 ; 4-byte Folded Reload
	v_mul_f64 v[106:107], v[74:75], s[10:11]
	v_add_f64 v[66:67], v[66:67], v[82:83]
	v_fma_f64 v[108:109], v[76:77], s[20:21], v[100:101]
	v_fma_f64 v[110:111], v[78:79], s[20:21], v[102:103]
	s_mov_b32 s21, 0xbfd5d0dc
	v_fma_f64 v[90:91], v[90:91], s[4:5], v[86:87]
	v_fma_f64 v[72:73], v[72:73], s[10:11], -v[100:101]
	v_fma_f64 v[74:75], v[74:75], s[10:11], -v[102:103]
	;; [unrolled: 1-line block ×5, first 2 shown]
	v_fma_f64 v[82:83], v[82:83], s[14:15], v[66:67]
	v_fma_f64 v[96:97], v[68:69], s[22:23], v[108:109]
	;; [unrolled: 1-line block ×7, first 2 shown]
	v_add_f64 v[90:91], v[90:91], v[82:83]
	v_add_f64 v[86:87], v[86:87], v[82:83]
	;; [unrolled: 1-line block ×4, first 2 shown]
	v_add_f64 v[76:77], v[80:81], -v[102:103]
	v_add_f64 v[80:81], v[102:103], v[80:81]
	v_add_f64 v[88:89], v[88:89], -v[98:99]
	v_add_f64 v[72:73], v[106:107], v[84:85]
	v_add_f64 v[70:71], v[90:91], -v[96:97]
	v_add_f64 v[74:75], v[86:87], -v[104:105]
	v_add_f64 v[78:79], v[100:101], v[82:83]
	v_add_f64 v[82:83], v[82:83], -v[100:101]
	v_add_f64 v[84:85], v[84:85], -v[106:107]
	v_add_f64 v[86:87], v[104:105], v[86:87]
	v_add_f64 v[90:91], v[96:97], v[90:91]
	s_waitcnt vmcnt(0)
	v_lshl_add_u32 v194, v255, 4, v92
	ds_write_b128 v194, v[64:67]
	ds_write_b128 v194, v[68:71] offset:272
	ds_write_b128 v194, v[72:75] offset:544
	;; [unrolled: 1-line block ×6, first 2 shown]
	s_waitcnt lgkmcnt(0)
	s_barrier
	s_and_saveexec_b64 s[4:5], vcc
	s_cbranch_execz .LBB0_9
; %bb.8:
	global_load_dwordx4 v[96:99], v211, s[6:7] offset:1904
	ds_read_b128 v[92:95], v194
	s_add_u32 s8, s6, 0x770
	s_addc_u32 s9, s7, 0
	s_waitcnt vmcnt(0) lgkmcnt(0)
	v_mul_f64 v[100:101], v[94:95], v[98:99]
	v_fma_f64 v[100:101], v[92:93], v[96:97], -v[100:101]
	v_mul_f64 v[92:93], v[92:93], v[98:99]
	v_fma_f64 v[102:103], v[94:95], v[96:97], v[92:93]
	global_load_dwordx4 v[96:99], v211, s[8:9] offset:112
	ds_read_b128 v[92:95], v194 offset:112
	ds_write_b128 v194, v[100:103]
	s_waitcnt vmcnt(0) lgkmcnt(1)
	v_mul_f64 v[100:101], v[94:95], v[98:99]
	v_fma_f64 v[100:101], v[92:93], v[96:97], -v[100:101]
	v_mul_f64 v[92:93], v[92:93], v[98:99]
	v_fma_f64 v[102:103], v[94:95], v[96:97], v[92:93]
	global_load_dwordx4 v[96:99], v211, s[8:9] offset:224
	ds_read_b128 v[92:95], v194 offset:224
	ds_write_b128 v194, v[100:103] offset:112
	s_waitcnt vmcnt(0) lgkmcnt(1)
	v_mul_f64 v[100:101], v[94:95], v[98:99]
	v_fma_f64 v[100:101], v[92:93], v[96:97], -v[100:101]
	v_mul_f64 v[92:93], v[92:93], v[98:99]
	v_fma_f64 v[102:103], v[94:95], v[96:97], v[92:93]
	global_load_dwordx4 v[96:99], v211, s[8:9] offset:336
	ds_read_b128 v[92:95], v194 offset:336
	ds_write_b128 v194, v[100:103] offset:224
	;; [unrolled: 8-line block ×15, first 2 shown]
	s_waitcnt vmcnt(0) lgkmcnt(1)
	v_mul_f64 v[100:101], v[94:95], v[98:99]
	v_fma_f64 v[100:101], v[92:93], v[96:97], -v[100:101]
	v_mul_f64 v[92:93], v[92:93], v[98:99]
	v_fma_f64 v[102:103], v[94:95], v[96:97], v[92:93]
	ds_write_b128 v194, v[100:103] offset:1792
.LBB0_9:
	s_or_b64 exec, exec, s[4:5]
	s_waitcnt lgkmcnt(0)
	s_barrier
	s_and_saveexec_b64 s[4:5], vcc
	s_cbranch_execz .LBB0_11
; %bb.10:
	ds_read_b128 v[64:67], v194
	ds_read_b128 v[68:71], v194 offset:112
	ds_read_b128 v[72:75], v194 offset:224
	;; [unrolled: 1-line block ×16, first 2 shown]
.LBB0_11:
	s_or_b64 exec, exec, s[4:5]
	s_waitcnt lgkmcnt(0)
	s_barrier
	s_and_saveexec_b64 s[4:5], vcc
	s_cbranch_execz .LBB0_13
; %bb.12:
	v_add_f64 v[191:192], v[68:69], -v[0:1]
	s_mov_b32 s18, 0xacd6c6b4
	s_mov_b32 s19, 0xbfc7851a
	v_add_f64 v[189:190], v[72:73], -v[4:5]
	v_add_f64 v[145:146], v[70:71], v[2:3]
	s_mov_b32 s38, 0x5d8e7cdc
	s_mov_b32 s14, 0x7faef3
	;; [unrolled: 1-line block ×3, first 2 shown]
	v_mul_f64 v[94:95], v[191:192], s[18:19]
	s_mov_b32 s15, 0xbfef7484
	v_add_f64 v[155:156], v[76:77], -v[8:9]
	v_mul_f64 v[98:99], v[189:190], s[38:39]
	v_add_f64 v[141:142], v[74:75], v[6:7]
	s_mov_b32 s24, 0x4363dd80
	s_mov_b32 s20, 0x370991
	;; [unrolled: 1-line block ×3, first 2 shown]
	v_fma_f64 v[100:101], v[145:146], s[14:15], v[94:95]
	s_mov_b32 s21, 0x3fedd6d0
	v_add_f64 v[153:154], v[80:81], -v[12:13]
	v_mul_f64 v[102:103], v[155:156], s[24:25]
	v_add_f64 v[143:144], v[78:79], v[10:11]
	v_fma_f64 v[104:105], v[141:142], s[20:21], v[98:99]
	s_mov_b32 s46, 0x2a9d6da3
	s_mov_b32 s16, 0x910ea3b9
	v_add_f64 v[100:101], v[66:67], v[100:101]
	s_mov_b32 s47, 0x3fe58eea
	s_mov_b32 s17, 0xbfeb34fa
	v_add_f64 v[151:152], v[84:85], -v[16:17]
	v_mul_f64 v[106:107], v[153:154], s[46:47]
	v_add_f64 v[139:140], v[82:83], v[14:15]
	v_fma_f64 v[108:109], v[143:144], s[16:17], v[102:103]
	s_mov_b32 s28, 0x6c9a05f6
	v_add_f64 v[100:101], v[104:105], v[100:101]
	s_mov_b32 s22, 0x75d4884
	s_mov_b32 s29, 0xbfe9895b
	;; [unrolled: 1-line block ×3, first 2 shown]
	v_add_f64 v[147:148], v[88:89], -v[20:21]
	v_mul_f64 v[104:105], v[151:152], s[28:29]
	v_add_f64 v[137:138], v[86:87], v[18:19]
	v_fma_f64 v[110:111], v[139:140], s[22:23], v[106:107]
	v_add_f64 v[100:101], v[108:109], v[100:101]
	v_add_f64 v[165:166], v[70:71], -v[2:3]
	s_mov_b32 s42, 0x7c9e640b
	s_mov_b32 s26, 0x6ed5f1bb
	;; [unrolled: 1-line block ×4, first 2 shown]
	v_mul_f64 v[108:109], v[147:148], s[42:43]
	v_add_f64 v[135:136], v[90:91], v[22:23]
	v_fma_f64 v[112:113], v[137:138], s[26:27], v[104:105]
	v_add_f64 v[100:101], v[110:111], v[100:101]
	v_add_f64 v[163:164], v[74:75], -v[6:7]
	v_add_f64 v[161:162], v[68:69], v[0:1]
	v_mul_f64 v[110:111], v[165:166], s[18:19]
	s_mov_b32 s34, 0x2b2883cd
	s_mov_b32 s35, 0x3fdc86fa
	v_fma_f64 v[114:115], v[135:136], s[34:35], v[108:109]
	v_add_f64 v[167:168], v[78:79], -v[10:11]
	v_add_f64 v[100:101], v[112:113], v[100:101]
	v_add_f64 v[159:160], v[72:73], v[4:5]
	v_mul_f64 v[112:113], v[163:164], s[38:39]
	v_fma_f64 v[116:117], v[161:162], s[14:15], -v[110:111]
	v_add_f64 v[171:172], v[82:83], -v[14:15]
	v_add_f64 v[157:158], v[76:77], v[8:9]
	v_add_f64 v[173:174], v[86:87], -v[18:19]
	v_fma_f64 v[94:95], v[145:146], s[14:15], -v[94:95]
	v_add_f64 v[100:101], v[114:115], v[100:101]
	v_mul_f64 v[114:115], v[167:168], s[24:25]
	v_fma_f64 v[120:121], v[159:160], s[20:21], -v[112:113]
	v_add_f64 v[116:117], v[64:65], v[116:117]
	v_add_f64 v[169:170], v[80:81], v[12:13]
	v_mul_f64 v[122:123], v[171:172], s[46:47]
	v_fma_f64 v[110:111], v[161:162], s[14:15], v[110:111]
	v_add_f64 v[187:188], v[90:91], -v[22:23]
	v_fma_f64 v[98:99], v[141:142], s[20:21], -v[98:99]
	v_fma_f64 v[124:125], v[157:158], s[16:17], -v[114:115]
	v_add_f64 v[94:95], v[66:67], v[94:95]
	v_add_f64 v[116:117], v[120:121], v[116:117]
	;; [unrolled: 1-line block ×3, first 2 shown]
	v_mul_f64 v[120:121], v[173:174], s[28:29]
	v_fma_f64 v[126:127], v[169:170], s[22:23], -v[122:123]
	v_fma_f64 v[112:113], v[159:160], s[20:21], v[112:113]
	v_add_f64 v[110:111], v[64:65], v[110:111]
	v_add_f64 v[133:134], v[24:25], -v[28:29]
	v_fma_f64 v[102:103], v[143:144], s[16:17], -v[102:103]
	v_add_f64 v[116:117], v[124:125], v[116:117]
	v_add_f64 v[94:95], v[98:99], v[94:95]
	;; [unrolled: 1-line block ×3, first 2 shown]
	v_mul_f64 v[98:99], v[187:188], s[42:43]
	v_fma_f64 v[124:125], v[185:186], s[26:27], -v[120:121]
	v_fma_f64 v[114:115], v[157:158], s[16:17], v[114:115]
	v_add_f64 v[110:111], v[112:113], v[110:111]
	s_mov_b32 s10, 0x923c349f
	v_add_f64 v[116:117], v[126:127], v[116:117]
	s_mov_b32 s11, 0xbfeec746
	v_add_f64 v[131:132], v[32:33], -v[36:37]
	v_mul_f64 v[92:93], v[133:134], s[10:11]
	v_add_f64 v[149:150], v[26:27], v[30:31]
	v_add_f64 v[181:182], v[26:27], -v[30:31]
	v_fma_f64 v[106:107], v[139:140], s[22:23], -v[106:107]
	v_add_f64 v[94:95], v[102:103], v[94:95]
	v_fma_f64 v[112:113], v[183:184], s[34:35], -v[98:99]
	v_add_f64 v[116:117], v[124:125], v[116:117]
	v_fma_f64 v[122:123], v[169:170], s[22:23], v[122:123]
	v_add_f64 v[110:111], v[114:115], v[110:111]
	s_mov_b32 s50, 0xeb564b22
	s_mov_b32 s30, 0xc61f0d01
	;; [unrolled: 1-line block ×4, first 2 shown]
	v_add_f64 v[129:130], v[34:35], v[38:39]
	v_mul_f64 v[96:97], v[131:132], s[50:51]
	v_fma_f64 v[118:119], v[149:150], s[30:31], v[92:93]
	v_add_f64 v[177:178], v[34:35], -v[38:39]
	v_add_f64 v[179:180], v[24:25], v[28:29]
	v_mul_f64 v[102:103], v[181:182], s[10:11]
	v_fma_f64 v[104:105], v[137:138], s[26:27], -v[104:105]
	v_add_f64 v[94:95], v[106:107], v[94:95]
	v_add_f64 v[112:113], v[112:113], v[116:117]
	v_fma_f64 v[116:117], v[185:186], s[26:27], v[120:121]
	v_add_f64 v[110:111], v[122:123], v[110:111]
	s_mov_b32 s8, 0x3259b75e
	s_mov_b32 s9, 0x3fb79ee6
	v_add_f64 v[175:176], v[32:33], v[36:37]
	v_mul_f64 v[106:107], v[177:178], s[50:51]
	v_fma_f64 v[114:115], v[179:180], s[30:31], -v[102:103]
	v_fma_f64 v[108:109], v[135:136], s[34:35], -v[108:109]
	v_add_f64 v[94:95], v[104:105], v[94:95]
	v_fma_f64 v[104:105], v[129:130], s[8:9], v[96:97]
	v_add_f64 v[100:101], v[118:119], v[100:101]
	v_fma_f64 v[98:99], v[183:184], s[34:35], v[98:99]
	v_add_f64 v[110:111], v[116:117], v[110:111]
	v_fma_f64 v[118:119], v[175:176], s[8:9], -v[106:107]
	v_add_f64 v[112:113], v[114:115], v[112:113]
	v_fma_f64 v[114:115], v[149:150], s[30:31], -v[92:93]
	v_add_f64 v[108:109], v[108:109], v[94:95]
	v_mul_f64 v[122:123], v[189:190], s[42:43]
	v_add_f64 v[94:95], v[104:105], v[100:101]
	v_fma_f64 v[100:101], v[179:180], s[30:31], v[102:103]
	v_add_f64 v[98:99], v[98:99], v[110:111]
	v_mul_f64 v[196:197], v[163:164], s[42:43]
	v_add_f64 v[92:93], v[118:119], v[112:113]
	v_mul_f64 v[118:119], v[165:166], s[24:25]
	s_mov_b32 s41, 0xbfefdd0d
	s_mov_b32 s40, s50
	v_mul_f64 v[200:201], v[155:156], s[40:41]
	v_fma_f64 v[202:203], v[141:142], s[34:35], v[122:123]
	v_add_f64 v[98:99], v[100:101], v[98:99]
	v_mul_f64 v[100:101], v[191:192], s[24:25]
	v_mul_f64 v[204:205], v[167:168], s[40:41]
	v_fma_f64 v[198:199], v[161:162], s[16:17], -v[118:119]
	v_fma_f64 v[206:207], v[159:160], s[34:35], -v[196:197]
	v_fma_f64 v[118:119], v[161:162], s[16:17], v[118:119]
	s_mov_b32 s55, 0x3fe9895b
	s_mov_b32 s54, s28
	v_mul_f64 v[126:127], v[153:154], s[54:55]
	v_fma_f64 v[124:125], v[145:146], s[16:17], v[100:101]
	v_fma_f64 v[100:101], v[145:146], s[16:17], -v[100:101]
	v_add_f64 v[198:199], v[64:65], v[198:199]
	v_fma_f64 v[212:213], v[143:144], s[8:9], v[200:201]
	v_fma_f64 v[214:215], v[157:158], s[8:9], -v[204:205]
	v_fma_f64 v[122:123], v[141:142], s[34:35], -v[122:123]
	v_fma_f64 v[196:197], v[159:160], s[34:35], v[196:197]
	v_add_f64 v[118:119], v[64:65], v[118:119]
	v_add_f64 v[124:125], v[66:67], v[124:125]
	;; [unrolled: 1-line block ×4, first 2 shown]
	s_mov_b32 s37, 0xbfd71e95
	s_mov_b32 s36, s38
	v_mul_f64 v[110:111], v[151:152], s[36:37]
	v_fma_f64 v[208:209], v[139:140], s[26:27], v[126:127]
	v_mul_f64 v[206:207], v[173:174], s[36:37]
	v_add_f64 v[124:125], v[202:203], v[124:125]
	v_mul_f64 v[202:203], v[171:172], s[54:55]
	v_add_f64 v[198:199], v[214:215], v[198:199]
	v_fma_f64 v[200:201], v[143:144], s[8:9], -v[200:201]
	v_add_f64 v[100:101], v[122:123], v[100:101]
	v_fma_f64 v[122:123], v[157:158], s[8:9], v[204:205]
	v_add_f64 v[118:119], v[196:197], v[118:119]
	v_add_f64 v[102:103], v[114:115], v[108:109]
	;; [unrolled: 1-line block ×3, first 2 shown]
	v_fma_f64 v[212:213], v[169:170], s[26:27], -v[202:203]
	v_mul_f64 v[108:109], v[147:148], s[18:19]
	v_fma_f64 v[120:121], v[137:138], s[20:21], v[110:111]
	v_mul_f64 v[196:197], v[187:188], s[18:19]
	v_fma_f64 v[204:205], v[185:186], s[20:21], -v[206:207]
	v_fma_f64 v[126:127], v[139:140], s[26:27], -v[126:127]
	v_add_f64 v[100:101], v[200:201], v[100:101]
	v_add_f64 v[124:125], v[208:209], v[124:125]
	;; [unrolled: 1-line block ×3, first 2 shown]
	v_fma_f64 v[200:201], v[169:170], s[26:27], v[202:203]
	v_add_f64 v[118:119], v[122:123], v[118:119]
	v_mul_f64 v[104:105], v[133:134], s[46:47]
	v_fma_f64 v[116:117], v[135:136], s[14:15], v[108:109]
	v_mul_f64 v[122:123], v[181:182], s[46:47]
	v_fma_f64 v[110:111], v[137:138], s[20:21], -v[110:111]
	v_add_f64 v[120:121], v[120:121], v[124:125]
	v_fma_f64 v[124:125], v[183:184], s[14:15], -v[196:197]
	v_add_f64 v[198:199], v[204:205], v[198:199]
	v_add_f64 v[100:101], v[126:127], v[100:101]
	v_fma_f64 v[126:127], v[185:186], s[20:21], v[206:207]
	v_add_f64 v[118:119], v[200:201], v[118:119]
	v_fma_f64 v[114:115], v[149:150], s[22:23], v[104:105]
	v_fma_f64 v[200:201], v[179:180], s[22:23], -v[122:123]
	v_add_f64 v[116:117], v[116:117], v[120:121]
	v_mul_f64 v[120:121], v[177:178], s[10:11]
	v_add_f64 v[124:125], v[124:125], v[198:199]
	v_add_f64 v[100:101], v[110:111], v[100:101]
	v_fma_f64 v[110:111], v[183:184], s[14:15], v[196:197]
	v_add_f64 v[118:119], v[126:127], v[118:119]
	v_fma_f64 v[96:97], v[129:130], s[8:9], -v[96:97]
	v_fma_f64 v[106:107], v[175:176], s[8:9], v[106:107]
	v_mul_f64 v[112:113], v[131:132], s[10:11]
	v_fma_f64 v[108:109], v[135:136], s[14:15], -v[108:109]
	v_add_f64 v[114:115], v[114:115], v[116:117]
	v_fma_f64 v[116:117], v[175:176], s[30:31], -v[120:121]
	v_add_f64 v[124:125], v[200:201], v[124:125]
	v_fma_f64 v[122:123], v[179:180], s[22:23], v[122:123]
	v_add_f64 v[110:111], v[110:111], v[118:119]
	v_add_f64 v[102:103], v[96:97], v[102:103]
	v_fma_f64 v[126:127], v[129:130], s[30:31], v[112:113]
	v_add_f64 v[108:109], v[108:109], v[100:101]
	v_add_f64 v[100:101], v[106:107], v[98:99]
	v_fma_f64 v[106:107], v[129:130], s[30:31], -v[112:113]
	v_add_f64 v[96:97], v[116:117], v[124:125]
	v_mul_f64 v[116:117], v[191:192], s[28:29]
	v_add_f64 v[112:113], v[122:123], v[110:111]
	v_mul_f64 v[122:123], v[165:166], s[28:29]
	s_mov_b32 s53, 0x3feec746
	s_mov_b32 s52, s10
	v_mul_f64 v[124:125], v[189:190], s[52:53]
	v_mul_f64 v[200:201], v[163:164], s[52:53]
	v_mul_f64 v[206:207], v[155:156], s[36:37]
	v_fma_f64 v[196:197], v[145:146], s[26:27], v[116:117]
	v_fma_f64 v[116:117], v[145:146], s[26:27], -v[116:117]
	v_fma_f64 v[202:203], v[161:162], s[26:27], -v[122:123]
	v_mul_f64 v[212:213], v[167:168], s[36:37]
	v_fma_f64 v[104:105], v[149:150], s[22:23], -v[104:105]
	v_fma_f64 v[208:209], v[141:142], s[30:31], v[124:125]
	v_fma_f64 v[214:215], v[159:160], s[30:31], -v[200:201]
	v_fma_f64 v[124:125], v[141:142], s[30:31], -v[124:125]
	v_add_f64 v[196:197], v[66:67], v[196:197]
	v_add_f64 v[116:117], v[66:67], v[116:117]
	;; [unrolled: 1-line block ×3, first 2 shown]
	v_mul_f64 v[216:217], v[153:154], s[24:25]
	v_fma_f64 v[218:219], v[143:144], s[20:21], v[206:207]
	v_fma_f64 v[220:221], v[157:158], s[20:21], -v[212:213]
	v_fma_f64 v[206:207], v[143:144], s[20:21], -v[206:207]
	v_fma_f64 v[122:123], v[161:162], s[26:27], v[122:123]
	v_add_f64 v[196:197], v[208:209], v[196:197]
	v_mul_f64 v[208:209], v[171:172], s[24:25]
	v_add_f64 v[202:203], v[214:215], v[202:203]
	v_add_f64 v[116:117], v[124:125], v[116:117]
	;; [unrolled: 1-line block ×3, first 2 shown]
	v_fma_f64 v[108:109], v[175:176], s[30:31], v[120:121]
	v_mul_f64 v[120:121], v[151:152], s[50:51]
	v_fma_f64 v[214:215], v[139:140], s[16:17], v[216:217]
	v_add_f64 v[124:125], v[218:219], v[196:197]
	v_mul_f64 v[196:197], v[173:174], s[50:51]
	v_fma_f64 v[218:219], v[169:170], s[16:17], -v[208:209]
	v_add_f64 v[202:203], v[220:221], v[202:203]
	v_fma_f64 v[216:217], v[139:140], s[16:17], -v[216:217]
	v_fma_f64 v[200:201], v[159:160], s[30:31], v[200:201]
	v_add_f64 v[122:123], v[64:65], v[122:123]
	v_add_f64 v[116:117], v[206:207], v[116:117]
	s_mov_b32 s45, 0xbfe58eea
	s_mov_b32 s44, s46
	v_mul_f64 v[118:119], v[147:148], s[44:45]
	v_fma_f64 v[204:205], v[137:138], s[8:9], v[120:121]
	v_add_f64 v[124:125], v[214:215], v[124:125]
	v_mul_f64 v[206:207], v[187:188], s[44:45]
	v_fma_f64 v[214:215], v[185:186], s[8:9], -v[196:197]
	v_add_f64 v[202:203], v[218:219], v[202:203]
	v_fma_f64 v[120:121], v[137:138], s[8:9], -v[120:121]
	v_fma_f64 v[212:213], v[157:158], s[20:21], v[212:213]
	v_add_f64 v[122:123], v[200:201], v[122:123]
	v_add_f64 v[116:117], v[216:217], v[116:117]
	;; [unrolled: 1-line block ×3, first 2 shown]
	v_mul_f64 v[114:115], v[133:134], s[18:19]
	v_fma_f64 v[198:199], v[135:136], s[22:23], v[118:119]
	v_add_f64 v[124:125], v[204:205], v[124:125]
	v_mul_f64 v[200:201], v[181:182], s[18:19]
	v_fma_f64 v[204:205], v[183:184], s[22:23], -v[206:207]
	v_add_f64 v[202:203], v[214:215], v[202:203]
	v_fma_f64 v[118:119], v[135:136], s[22:23], -v[118:119]
	v_fma_f64 v[208:209], v[169:170], s[16:17], v[208:209]
	v_add_f64 v[122:123], v[212:213], v[122:123]
	v_add_f64 v[116:117], v[120:121], v[116:117]
	v_mul_f64 v[110:111], v[131:132], s[42:43]
	v_fma_f64 v[126:127], v[149:150], s[14:15], v[114:115]
	v_add_f64 v[120:121], v[198:199], v[124:125]
	v_mul_f64 v[124:125], v[177:178], s[42:43]
	v_fma_f64 v[198:199], v[179:180], s[14:15], -v[200:201]
	v_add_f64 v[202:203], v[204:205], v[202:203]
	v_fma_f64 v[114:115], v[149:150], s[14:15], -v[114:115]
	v_fma_f64 v[196:197], v[185:186], s[8:9], v[196:197]
	v_add_f64 v[122:123], v[208:209], v[122:123]
	v_add_f64 v[116:117], v[118:119], v[116:117]
	v_fma_f64 v[118:119], v[129:130], s[34:35], v[110:111]
	v_add_f64 v[120:121], v[126:127], v[120:121]
	v_fma_f64 v[126:127], v[175:176], s[34:35], -v[124:125]
	v_add_f64 v[198:199], v[198:199], v[202:203]
	v_fma_f64 v[204:205], v[183:184], s[22:23], v[206:207]
	s_mov_b32 s57, 0x3fe0d888
	v_add_f64 v[122:123], v[196:197], v[122:123]
	v_add_f64 v[114:115], v[114:115], v[116:117]
	v_mul_f64 v[116:117], v[191:192], s[10:11]
	s_mov_b32 s56, s24
	v_fma_f64 v[202:203], v[129:130], s[34:35], -v[110:111]
	v_add_f64 v[110:111], v[106:107], v[104:105]
	v_add_f64 v[108:109], v[108:109], v[112:113]
	;; [unrolled: 1-line block ×4, first 2 shown]
	v_fma_f64 v[112:113], v[179:180], s[14:15], v[200:201]
	v_add_f64 v[118:119], v[204:205], v[122:123]
	v_mul_f64 v[120:121], v[189:190], s[56:57]
	v_fma_f64 v[122:123], v[175:176], s[34:35], v[124:125]
	v_mul_f64 v[124:125], v[165:166], s[10:11]
	v_fma_f64 v[126:127], v[145:146], s[30:31], v[116:117]
	v_add_f64 v[114:115], v[202:203], v[114:115]
	v_mul_f64 v[202:203], v[163:164], s[56:57]
	s_mov_b32 s49, 0xbfeca52d
	v_add_f64 v[112:113], v[112:113], v[118:119]
	v_mul_f64 v[118:119], v[155:156], s[46:47]
	v_fma_f64 v[200:201], v[141:142], s[16:17], v[120:121]
	v_fma_f64 v[204:205], v[161:162], s[30:31], -v[124:125]
	v_add_f64 v[126:127], v[66:67], v[126:127]
	s_mov_b32 s48, s42
	v_mul_f64 v[206:207], v[153:154], s[48:49]
	v_mul_f64 v[212:213], v[167:168], s[46:47]
	v_fma_f64 v[214:215], v[159:160], s[16:17], -v[202:203]
	v_fma_f64 v[208:209], v[143:144], s[22:23], v[118:119]
	v_mul_f64 v[216:217], v[151:152], s[18:19]
	v_add_f64 v[204:205], v[64:65], v[204:205]
	v_add_f64 v[126:127], v[200:201], v[126:127]
	v_mul_f64 v[220:221], v[171:172], s[48:49]
	v_fma_f64 v[218:219], v[139:140], s[34:35], v[206:207]
	v_fma_f64 v[222:223], v[157:158], s[22:23], -v[212:213]
	v_fma_f64 v[116:117], v[145:146], s[30:31], -v[116:117]
	v_mul_f64 v[224:225], v[173:174], s[18:19]
	v_fma_f64 v[120:121], v[141:142], s[16:17], -v[120:121]
	v_add_f64 v[204:205], v[214:215], v[204:205]
	v_add_f64 v[126:127], v[208:209], v[126:127]
	v_mul_f64 v[208:209], v[147:148], s[50:51]
	v_fma_f64 v[214:215], v[137:138], s[14:15], v[216:217]
	v_fma_f64 v[226:227], v[169:170], s[34:35], -v[220:221]
	v_add_f64 v[116:117], v[66:67], v[116:117]
	v_mul_f64 v[198:199], v[133:134], s[36:37]
	v_fma_f64 v[228:229], v[185:186], s[14:15], -v[224:225]
	v_add_f64 v[204:205], v[222:223], v[204:205]
	v_add_f64 v[126:127], v[218:219], v[126:127]
	v_fma_f64 v[218:219], v[135:136], s[8:9], v[208:209]
	v_mul_f64 v[222:223], v[187:188], s[50:51]
	v_fma_f64 v[118:119], v[143:144], s[22:23], -v[118:119]
	v_fma_f64 v[124:125], v[161:162], s[30:31], v[124:125]
	v_add_f64 v[116:117], v[120:121], v[116:117]
	v_mul_f64 v[196:197], v[131:132], s[28:29]
	v_add_f64 v[120:121], v[226:227], v[204:205]
	v_add_f64 v[126:127], v[214:215], v[126:127]
	v_fma_f64 v[200:201], v[149:150], s[20:21], v[198:199]
	v_mul_f64 v[204:205], v[181:182], s[36:37]
	v_fma_f64 v[214:215], v[183:184], s[8:9], -v[222:223]
	v_fma_f64 v[206:207], v[139:140], s[34:35], -v[206:207]
	v_fma_f64 v[202:203], v[159:160], s[16:17], v[202:203]
	v_add_f64 v[124:125], v[64:65], v[124:125]
	v_add_f64 v[116:117], v[118:119], v[116:117]
	;; [unrolled: 1-line block ×4, first 2 shown]
	v_mul_f64 v[126:127], v[177:178], s[28:29]
	v_fma_f64 v[218:219], v[179:180], s[20:21], -v[204:205]
	v_fma_f64 v[216:217], v[137:138], s[14:15], -v[216:217]
	v_fma_f64 v[212:213], v[157:158], s[22:23], v[212:213]
	v_add_f64 v[124:125], v[202:203], v[124:125]
	v_add_f64 v[116:117], v[206:207], v[116:117]
	;; [unrolled: 1-line block ×3, first 2 shown]
	v_fma_f64 v[202:203], v[129:130], s[26:27], v[196:197]
	v_add_f64 v[120:121], v[200:201], v[120:121]
	v_fma_f64 v[200:201], v[175:176], s[26:27], -v[126:127]
	v_fma_f64 v[206:207], v[135:136], s[8:9], -v[208:209]
	v_fma_f64 v[208:209], v[169:170], s[34:35], v[220:221]
	v_add_f64 v[124:125], v[212:213], v[124:125]
	v_add_f64 v[116:117], v[216:217], v[116:117]
	;; [unrolled: 1-line block ×5, first 2 shown]
	v_fma_f64 v[120:121], v[149:150], s[20:21], -v[198:199]
	v_mul_f64 v[198:199], v[191:192], s[40:41]
	v_fma_f64 v[122:123], v[185:186], s[14:15], v[224:225]
	v_add_f64 v[124:125], v[208:209], v[124:125]
	v_add_f64 v[202:203], v[206:207], v[116:117]
	;; [unrolled: 1-line block ×3, first 2 shown]
	v_mul_f64 v[206:207], v[165:166], s[40:41]
	v_mul_f64 v[208:209], v[189:190], s[18:19]
	v_fma_f64 v[200:201], v[183:184], s[8:9], v[222:223]
	v_fma_f64 v[212:213], v[145:146], s[8:9], v[198:199]
	v_mul_f64 v[218:219], v[167:168], s[52:53]
	v_add_f64 v[122:123], v[122:123], v[124:125]
	v_add_f64 v[120:121], v[120:121], v[202:203]
	v_fma_f64 v[124:125], v[179:180], s[20:21], v[204:205]
	v_mul_f64 v[202:203], v[155:156], s[52:53]
	v_mul_f64 v[204:205], v[163:164], s[18:19]
	v_fma_f64 v[214:215], v[161:162], s[8:9], -v[206:207]
	v_fma_f64 v[216:217], v[141:142], s[14:15], v[208:209]
	v_add_f64 v[212:213], v[66:67], v[212:213]
	v_add_f64 v[122:123], v[200:201], v[122:123]
	v_fma_f64 v[200:201], v[175:176], s[26:27], v[126:127]
	v_mul_f64 v[126:127], v[153:154], s[38:39]
	v_fma_f64 v[222:223], v[143:144], s[30:31], v[202:203]
	v_fma_f64 v[220:221], v[159:160], s[14:15], -v[204:205]
	v_add_f64 v[214:215], v[64:65], v[214:215]
	v_fma_f64 v[198:199], v[145:146], s[8:9], -v[198:199]
	v_add_f64 v[212:213], v[216:217], v[212:213]
	v_add_f64 v[122:123], v[124:125], v[122:123]
	v_mul_f64 v[124:125], v[151:152], s[48:49]
	v_mul_f64 v[216:217], v[171:172], s[38:39]
	v_fma_f64 v[224:225], v[157:158], s[30:31], -v[218:219]
	v_fma_f64 v[208:209], v[141:142], s[14:15], -v[208:209]
	v_add_f64 v[214:215], v[220:221], v[214:215]
	v_fma_f64 v[220:221], v[139:140], s[20:21], v[126:127]
	v_add_f64 v[212:213], v[222:223], v[212:213]
	v_add_f64 v[198:199], v[66:67], v[198:199]
	v_mul_f64 v[222:223], v[147:148], s[24:25]
	v_mul_f64 v[226:227], v[173:174], s[48:49]
	v_fma_f64 v[228:229], v[169:170], s[20:21], -v[216:217]
	v_fma_f64 v[202:203], v[143:144], s[30:31], -v[202:203]
	v_add_f64 v[214:215], v[224:225], v[214:215]
	v_fma_f64 v[224:225], v[137:138], s[34:35], v[124:125]
	;; [unrolled: 8-line block ×3, first 2 shown]
	v_add_f64 v[212:213], v[224:225], v[212:213]
	v_add_f64 v[198:199], v[202:203], v[198:199]
	v_mul_f64 v[224:225], v[131:132], s[46:47]
	v_mul_f64 v[202:203], v[181:182], s[54:55]
	v_fma_f64 v[232:233], v[183:184], s[16:17], -v[208:209]
	v_fma_f64 v[206:207], v[161:162], s[8:9], v[206:207]
	v_add_f64 v[214:215], v[230:231], v[214:215]
	v_fma_f64 v[230:231], v[149:150], s[26:27], v[220:221]
	v_add_f64 v[212:213], v[228:229], v[212:213]
	v_fma_f64 v[124:125], v[137:138], s[34:35], -v[124:125]
	v_add_f64 v[126:127], v[126:127], v[198:199]
	v_fma_f64 v[196:197], v[129:130], s[26:27], -v[196:197]
	v_mul_f64 v[198:199], v[177:178], s[46:47]
	v_fma_f64 v[228:229], v[179:180], s[26:27], -v[202:203]
	v_add_f64 v[214:215], v[232:233], v[214:215]
	v_fma_f64 v[232:233], v[129:130], s[22:23], v[224:225]
	v_fma_f64 v[204:205], v[159:160], s[14:15], v[204:205]
	v_add_f64 v[206:207], v[64:65], v[206:207]
	v_fma_f64 v[222:223], v[135:136], s[16:17], -v[222:223]
	v_add_f64 v[124:125], v[124:125], v[126:127]
	v_add_f64 v[212:213], v[230:231], v[212:213]
	v_fma_f64 v[230:231], v[175:176], s[22:23], -v[198:199]
	v_add_f64 v[214:215], v[228:229], v[214:215]
	v_add_f64 v[126:127], v[196:197], v[120:121]
	v_fma_f64 v[196:197], v[157:158], s[30:31], v[218:219]
	v_add_f64 v[204:205], v[204:205], v[206:207]
	v_fma_f64 v[206:207], v[149:150], s[26:27], -v[220:221]
	v_add_f64 v[218:219], v[222:223], v[124:125]
	v_add_f64 v[124:125], v[200:201], v[122:123]
	;; [unrolled: 1-line block ×3, first 2 shown]
	v_mul_f64 v[212:213], v[191:192], s[48:49]
	v_add_f64 v[120:121], v[230:231], v[214:215]
	v_fma_f64 v[200:201], v[169:170], s[20:21], v[216:217]
	v_add_f64 v[196:197], v[196:197], v[204:205]
	v_mul_f64 v[214:215], v[165:166], s[48:49]
	v_add_f64 v[206:207], v[206:207], v[218:219]
	v_mul_f64 v[218:219], v[189:190], s[28:29]
	v_add_f64 v[70:71], v[70:71], v[66:67]
	v_fma_f64 v[220:221], v[145:146], s[34:35], v[212:213]
	v_add_f64 v[68:69], v[68:69], v[64:65]
	s_mov_b32 s51, 0x3fc7851a
	s_mov_b32 s50, s18
	v_fma_f64 v[204:205], v[129:130], s[22:23], -v[224:225]
	v_fma_f64 v[216:217], v[185:186], s[34:35], v[226:227]
	v_add_f64 v[196:197], v[200:201], v[196:197]
	v_mul_f64 v[222:223], v[163:164], s[28:29]
	v_fma_f64 v[200:201], v[161:162], s[34:35], -v[214:215]
	v_mul_f64 v[224:225], v[155:156], s[50:51]
	v_fma_f64 v[226:227], v[141:142], s[26:27], v[218:219]
	v_add_f64 v[220:221], v[66:67], v[220:221]
	v_add_f64 v[70:71], v[74:75], v[70:71]
	;; [unrolled: 1-line block ×3, first 2 shown]
	v_fma_f64 v[208:209], v[183:184], s[16:17], v[208:209]
	v_add_f64 v[196:197], v[216:217], v[196:197]
	v_mul_f64 v[216:217], v[167:168], s[50:51]
	v_fma_f64 v[228:229], v[159:160], s[26:27], -v[222:223]
	v_add_f64 v[200:201], v[64:65], v[200:201]
	v_mul_f64 v[230:231], v[153:154], s[52:53]
	v_fma_f64 v[232:233], v[143:144], s[14:15], v[224:225]
	v_add_f64 v[220:221], v[226:227], v[220:221]
	v_fma_f64 v[212:213], v[145:146], s[34:35], -v[212:213]
	v_add_f64 v[70:71], v[78:79], v[70:71]
	v_add_f64 v[68:69], v[76:77], v[68:69]
	v_add_f64 v[196:197], v[208:209], v[196:197]
	v_mul_f64 v[208:209], v[171:172], s[52:53]
	v_fma_f64 v[226:227], v[157:158], s[14:15], -v[216:217]
	v_add_f64 v[200:201], v[228:229], v[200:201]
	v_mul_f64 v[228:229], v[151:152], s[46:47]
	v_fma_f64 v[234:235], v[139:140], s[30:31], v[230:231]
	v_add_f64 v[220:221], v[232:233], v[220:221]
	v_fma_f64 v[218:219], v[141:142], s[26:27], -v[218:219]
	v_add_f64 v[212:213], v[66:67], v[212:213]
	v_add_f64 v[70:71], v[82:83], v[70:71]
	;; [unrolled: 10-line block ×3, first 2 shown]
	v_add_f64 v[84:85], v[84:85], v[68:69]
	v_fma_f64 v[240:241], v[185:186], s[22:23], -v[232:233]
	v_add_f64 v[200:201], v[236:237], v[200:201]
	v_mul_f64 v[218:219], v[133:134], s[40:41]
	v_fma_f64 v[236:237], v[135:136], s[20:21], v[226:227]
	v_add_f64 v[220:221], v[238:239], v[220:221]
	v_fma_f64 v[230:231], v[139:140], s[30:31], -v[230:231]
	v_add_f64 v[212:213], v[224:225], v[212:213]
	v_add_f64 v[70:71], v[70:71], v[90:91]
	;; [unrolled: 1-line block ×3, first 2 shown]
	v_fma_f64 v[202:203], v[179:180], s[26:27], v[202:203]
	v_mul_f64 v[234:235], v[187:188], s[36:37]
	v_add_f64 v[200:201], v[240:241], v[200:201]
	v_mul_f64 v[224:225], v[131:132], s[24:25]
	v_fma_f64 v[240:241], v[149:150], s[8:9], v[218:219]
	v_add_f64 v[220:221], v[236:237], v[220:221]
	v_fma_f64 v[228:229], v[137:138], s[22:23], -v[228:229]
	v_add_f64 v[212:213], v[230:231], v[212:213]
	v_add_f64 v[26:27], v[70:71], v[26:27]
	;; [unrolled: 1-line block ×3, first 2 shown]
	v_mul_f64 v[238:239], v[181:182], s[40:41]
	v_fma_f64 v[242:243], v[183:184], s[20:21], -v[234:235]
	v_fma_f64 v[230:231], v[175:176], s[22:23], v[198:199]
	v_add_f64 v[196:197], v[202:203], v[196:197]
	v_fma_f64 v[202:203], v[129:130], s[16:17], v[224:225]
	v_add_f64 v[220:221], v[240:241], v[220:221]
	v_fma_f64 v[226:227], v[135:136], s[20:21], -v[226:227]
	v_add_f64 v[212:213], v[228:229], v[212:213]
	v_add_f64 v[198:199], v[204:205], v[206:207]
	v_fma_f64 v[204:205], v[161:162], s[34:35], v[214:215]
	v_add_f64 v[26:27], v[26:27], v[34:35]
	v_add_f64 v[24:25], v[24:25], v[32:33]
	v_mul_f64 v[236:237], v[177:178], s[24:25]
	v_fma_f64 v[244:245], v[179:180], s[8:9], -v[238:239]
	v_add_f64 v[200:201], v[242:243], v[200:201]
	v_add_f64 v[202:203], v[202:203], v[220:221]
	v_fma_f64 v[206:207], v[149:150], s[8:9], -v[218:219]
	v_mul_f64 v[214:215], v[191:192], s[44:45]
	v_add_f64 v[212:213], v[226:227], v[212:213]
	v_fma_f64 v[218:219], v[159:160], s[26:27], v[222:223]
	v_mul_f64 v[220:221], v[165:166], s[44:45]
	v_add_f64 v[204:205], v[64:65], v[204:205]
	v_add_f64 v[26:27], v[26:27], v[38:39]
	;; [unrolled: 1-line block ×3, first 2 shown]
	v_fma_f64 v[240:241], v[175:176], s[16:17], -v[236:237]
	v_add_f64 v[200:201], v[244:245], v[200:201]
	v_fma_f64 v[222:223], v[129:130], s[16:17], -v[224:225]
	v_mul_f64 v[224:225], v[189:190], s[40:41]
	v_fma_f64 v[226:227], v[145:146], s[22:23], v[214:215]
	v_add_f64 v[206:207], v[206:207], v[212:213]
	v_fma_f64 v[212:213], v[157:158], s[14:15], v[216:217]
	v_mul_f64 v[216:217], v[163:164], s[40:41]
	v_fma_f64 v[228:229], v[161:162], s[22:23], -v[220:221]
	v_add_f64 v[204:205], v[218:219], v[204:205]
	v_add_f64 v[26:27], v[26:27], v[30:31]
	;; [unrolled: 1-line block ×5, first 2 shown]
	v_fma_f64 v[230:231], v[141:142], s[8:9], v[224:225]
	v_add_f64 v[226:227], v[66:67], v[226:227]
	v_fma_f64 v[208:209], v[169:170], s[30:31], v[208:209]
	v_mul_f64 v[240:241], v[167:168], s[28:29]
	v_fma_f64 v[242:243], v[159:160], s[8:9], -v[216:217]
	v_add_f64 v[228:229], v[64:65], v[228:229]
	v_add_f64 v[204:205], v[212:213], v[204:205]
	v_fma_f64 v[214:215], v[145:146], s[22:23], -v[214:215]
	v_add_f64 v[22:23], v[26:27], v[22:23]
	v_add_f64 v[20:21], v[24:25], v[20:21]
	v_mul_f64 v[218:219], v[155:156], s[28:29]
	v_add_f64 v[226:227], v[230:231], v[226:227]
	v_fma_f64 v[230:231], v[185:186], s[22:23], v[232:233]
	v_mul_f64 v[232:233], v[171:172], s[18:19]
	v_fma_f64 v[246:247], v[157:158], s[26:27], -v[240:241]
	v_add_f64 v[228:229], v[242:243], v[228:229]
	v_add_f64 v[204:205], v[208:209], v[204:205]
	v_fma_f64 v[224:225], v[141:142], s[8:9], -v[224:225]
	v_add_f64 v[214:215], v[66:67], v[214:215]
	v_add_f64 v[18:19], v[22:23], v[18:19]
	;; [unrolled: 1-line block ×3, first 2 shown]
	v_mul_f64 v[212:213], v[153:154], s[18:19]
	v_fma_f64 v[244:245], v[143:144], s[26:27], v[218:219]
	v_fma_f64 v[248:249], v[169:170], s[14:15], -v[232:233]
	v_add_f64 v[228:229], v[246:247], v[228:229]
	v_add_f64 v[204:205], v[230:231], v[204:205]
	v_mul_f64 v[230:231], v[147:148], s[52:53]
	v_fma_f64 v[220:221], v[161:162], s[22:23], v[220:221]
	v_fma_f64 v[218:219], v[143:144], s[26:27], -v[218:219]
	v_mul_f64 v[191:192], v[191:192], s[36:37]
	v_add_f64 v[214:215], v[224:225], v[214:215]
	v_add_f64 v[14:15], v[18:19], v[14:15]
	;; [unrolled: 1-line block ×3, first 2 shown]
	v_mul_f64 v[208:209], v[151:152], s[56:57]
	v_fma_f64 v[242:243], v[139:140], s[14:15], v[212:213]
	v_add_f64 v[228:229], v[248:249], v[228:229]
	v_fma_f64 v[248:249], v[135:136], s[30:31], v[230:231]
	v_fma_f64 v[224:225], v[135:136], s[30:31], -v[230:231]
	v_fma_f64 v[216:217], v[159:160], s[8:9], v[216:217]
	v_add_f64 v[220:221], v[64:65], v[220:221]
	v_fma_f64 v[212:213], v[139:140], s[14:15], -v[212:213]
	v_mul_f64 v[189:190], v[189:190], s[44:45]
	v_fma_f64 v[230:231], v[145:146], s[20:21], v[191:192]
	v_add_f64 v[214:215], v[218:219], v[214:215]
	v_add_f64 v[10:11], v[14:15], v[10:11]
	;; [unrolled: 1-line block ×4, first 2 shown]
	v_fma_f64 v[234:235], v[183:184], s[20:21], v[234:235]
	v_mul_f64 v[244:245], v[173:174], s[56:57]
	v_fma_f64 v[246:247], v[137:138], s[16:17], v[208:209]
	v_fma_f64 v[208:209], v[137:138], s[16:17], -v[208:209]
	v_fma_f64 v[218:219], v[157:158], s[26:27], v[240:241]
	v_add_f64 v[216:217], v[216:217], v[220:221]
	v_mul_f64 v[155:156], v[155:156], s[48:49]
	v_fma_f64 v[220:221], v[141:142], s[22:23], v[189:190]
	v_add_f64 v[230:231], v[66:67], v[230:231]
	v_add_f64 v[212:213], v[212:213], v[214:215]
	;; [unrolled: 1-line block ×4, first 2 shown]
	v_fma_f64 v[250:251], v[185:186], s[16:17], -v[244:245]
	v_add_f64 v[204:205], v[234:235], v[204:205]
	v_mul_f64 v[234:235], v[133:134], s[42:43]
	v_fma_f64 v[214:215], v[169:170], s[14:15], v[232:233]
	v_add_f64 v[72:73], v[218:219], v[216:217]
	v_mul_f64 v[74:75], v[153:154], s[40:41]
	v_fma_f64 v[153:154], v[143:144], s[34:35], v[155:156]
	v_add_f64 v[216:217], v[220:221], v[230:231]
	v_add_f64 v[208:209], v[208:209], v[212:213]
	;; [unrolled: 1-line block ×4, first 2 shown]
	buffer_load_dword v0, off, s[60:63], 0  ; 4-byte Folded Reload
	v_add_f64 v[226:227], v[242:243], v[226:227]
	v_mul_f64 v[242:243], v[187:188], s[52:53]
	v_add_f64 v[228:229], v[250:251], v[228:229]
	v_fma_f64 v[250:251], v[149:150], s[34:35], v[234:235]
	v_fma_f64 v[234:235], v[149:150], s[34:35], -v[234:235]
	v_fma_f64 v[212:213], v[185:186], s[16:17], v[244:245]
	v_add_f64 v[72:73], v[214:215], v[72:73]
	v_mul_f64 v[76:77], v[151:152], s[10:11]
	v_add_f64 v[151:152], v[153:154], v[216:217]
	v_add_f64 v[153:154], v[224:225], v[208:209]
	v_mul_f64 v[70:71], v[165:166], s[36:37]
	v_fma_f64 v[238:239], v[179:180], s[8:9], v[238:239]
	v_add_f64 v[226:227], v[246:247], v[226:227]
	v_mul_f64 v[246:247], v[181:182], s[42:43]
	v_fma_f64 v[78:79], v[139:140], s[8:9], v[74:75]
	v_fma_f64 v[208:209], v[183:184], s[30:31], v[242:243]
	v_add_f64 v[72:73], v[212:213], v[72:73]
	v_mul_f64 v[80:81], v[147:148], s[28:29]
	v_add_f64 v[147:148], v[234:235], v[153:154]
	v_fma_f64 v[145:146], v[145:146], s[20:21], -v[191:192]
	v_mul_f64 v[153:154], v[163:164], s[44:45]
	v_fma_f64 v[32:33], v[161:162], s[20:21], v[70:71]
	v_fma_f64 v[70:71], v[161:162], s[20:21], -v[70:71]
	v_add_f64 v[204:205], v[238:239], v[204:205]
	v_mul_f64 v[238:239], v[131:132], s[38:39]
	v_add_f64 v[78:79], v[78:79], v[151:152]
	v_fma_f64 v[151:152], v[179:180], s[34:35], v[246:247]
	v_add_f64 v[72:73], v[208:209], v[72:73]
	v_mul_f64 v[34:35], v[167:168], s[48:49]
	v_fma_f64 v[141:142], v[141:142], s[22:23], -v[189:190]
	v_add_f64 v[66:67], v[66:67], v[145:146]
	v_fma_f64 v[145:146], v[159:160], s[22:23], v[153:154]
	v_add_f64 v[32:33], v[64:65], v[32:33]
	v_fma_f64 v[36:37], v[159:160], s[22:23], -v[153:154]
	v_add_f64 v[38:39], v[64:65], v[70:71]
	v_add_f64 v[206:207], v[222:223], v[206:207]
	v_fma_f64 v[222:223], v[129:130], s[20:21], v[238:239]
	v_fma_f64 v[238:239], v[129:130], s[20:21], -v[238:239]
	v_add_f64 v[72:73], v[151:152], v[72:73]
	v_mul_f64 v[151:152], v[171:172], s[40:41]
	v_fma_f64 v[64:65], v[143:144], s[34:35], -v[155:156]
	v_add_f64 v[66:67], v[141:142], v[66:67]
	v_fma_f64 v[70:71], v[157:158], s[34:35], v[34:35]
	v_add_f64 v[28:29], v[145:146], v[32:33]
	v_fma_f64 v[30:31], v[157:158], s[34:35], -v[34:35]
	v_add_f64 v[32:33], v[36:37], v[38:39]
	v_fma_f64 v[82:83], v[137:138], s[30:31], v[76:77]
	v_add_f64 v[68:69], v[238:239], v[147:148]
	v_mul_f64 v[147:148], v[173:174], s[10:11]
	v_fma_f64 v[34:35], v[139:140], s[8:9], -v[74:75]
	v_add_f64 v[36:37], v[64:65], v[66:67]
	v_fma_f64 v[38:39], v[169:170], s[8:9], v[151:152]
	v_add_f64 v[24:25], v[70:71], v[28:29]
	v_fma_f64 v[26:27], v[169:170], s[8:9], -v[151:152]
	v_add_f64 v[28:29], v[30:31], v[32:33]
	v_mul_f64 v[86:87], v[133:134], s[24:25]
	v_fma_f64 v[133:134], v[135:136], s[26:27], v[80:81]
	v_add_f64 v[78:79], v[82:83], v[78:79]
	v_mul_f64 v[84:85], v[187:188], s[28:29]
	v_fma_f64 v[30:31], v[137:138], s[30:31], -v[76:77]
	v_add_f64 v[32:33], v[34:35], v[36:37]
	v_fma_f64 v[34:35], v[185:186], s[30:31], v[147:148]
	v_add_f64 v[20:21], v[38:39], v[24:25]
	v_fma_f64 v[22:23], v[185:186], s[30:31], -v[147:148]
	v_add_f64 v[24:25], v[26:27], v[28:29]
	v_add_f64 v[78:79], v[133:134], v[78:79]
	v_mul_f64 v[133:134], v[181:182], s[24:25]
	v_fma_f64 v[26:27], v[135:136], s[26:27], -v[80:81]
	v_add_f64 v[28:29], v[30:31], v[32:33]
	v_fma_f64 v[30:31], v[183:184], s[26:27], v[84:85]
	v_add_f64 v[16:17], v[34:35], v[20:21]
	v_fma_f64 v[252:253], v[183:184], s[30:31], -v[242:243]
	v_fma_f64 v[18:19], v[183:184], s[26:27], -v[84:85]
	v_add_f64 v[20:21], v[22:23], v[24:25]
	v_mul_f64 v[88:89], v[131:132], s[18:19]
	v_mul_f64 v[131:132], v[177:178], s[18:19]
	v_fma_f64 v[22:23], v[149:150], s[16:17], -v[86:87]
	v_add_f64 v[24:25], v[26:27], v[28:29]
	v_fma_f64 v[26:27], v[179:180], s[16:17], v[133:134]
	v_add_f64 v[12:13], v[30:31], v[16:17]
	v_add_f64 v[226:227], v[248:249], v[226:227]
	v_mul_f64 v[248:249], v[177:178], s[38:39]
	v_fma_f64 v[236:237], v[175:176], s[16:17], v[236:237]
	v_mov_b32_e32 v210, v255
	v_fma_f64 v[254:255], v[179:180], s[34:35], -v[246:247]
	v_add_f64 v[228:229], v[252:253], v[228:229]
	v_fma_f64 v[90:91], v[149:150], s[16:17], v[86:87]
	v_fma_f64 v[14:15], v[179:180], s[16:17], -v[133:134]
	v_add_f64 v[16:17], v[18:19], v[20:21]
	v_fma_f64 v[18:19], v[129:130], s[14:15], -v[88:89]
	v_add_f64 v[20:21], v[22:23], v[24:25]
	v_fma_f64 v[22:23], v[175:176], s[14:15], v[131:132]
	v_add_f64 v[12:13], v[26:27], v[12:13]
	v_fma_f64 v[82:83], v[175:176], s[20:21], v[248:249]
	v_add_f64 v[204:205], v[236:237], v[204:205]
	v_add_f64 v[226:227], v[250:251], v[226:227]
	v_fma_f64 v[236:237], v[175:176], s[20:21], -v[248:249]
	v_add_f64 v[228:229], v[254:255], v[228:229]
	v_fma_f64 v[24:25], v[129:130], s[14:15], v[88:89]
	v_add_f64 v[26:27], v[90:91], v[78:79]
	v_fma_f64 v[28:29], v[175:176], s[14:15], -v[131:132]
	v_add_f64 v[14:15], v[14:15], v[16:17]
	v_add_f64 v[4:5], v[18:19], v[20:21]
	;; [unrolled: 1-line block ×4, first 2 shown]
	v_mov_b32_e32 v255, v210
	s_waitcnt vmcnt(0)
	v_lshl_add_u32 v0, v193, 4, v0
	v_add_f64 v[12:13], v[222:223], v[226:227]
	v_add_f64 v[10:11], v[236:237], v[228:229]
	;; [unrolled: 1-line block ×4, first 2 shown]
	ds_write_b128 v0, v[6:9]
	ds_write_b128 v0, v[2:5] offset:16
	ds_write_b128 v0, v[66:69] offset:32
	;; [unrolled: 1-line block ×16, first 2 shown]
.LBB0_13:
	s_or_b64 exec, exec, s[4:5]
	s_waitcnt lgkmcnt(0)
	s_barrier
	ds_read_b128 v[0:3], v195 offset:272
	ds_read_b128 v[4:7], v195 offset:544
	;; [unrolled: 1-line block ×3, first 2 shown]
	ds_read_b128 v[12:15], v195
	ds_read_b128 v[16:19], v195 offset:1088
	ds_read_b128 v[20:23], v195 offset:1360
	;; [unrolled: 1-line block ×3, first 2 shown]
	s_mov_b32 s4, 0x37e14327
	s_waitcnt lgkmcnt(6)
	v_mul_f64 v[28:29], v[54:55], v[2:3]
	v_mul_f64 v[30:31], v[54:55], v[0:1]
	s_waitcnt lgkmcnt(5)
	v_mul_f64 v[32:33], v[50:51], v[6:7]
	v_mul_f64 v[34:35], v[50:51], v[4:5]
	;; [unrolled: 3-line block ×3, first 2 shown]
	s_mov_b32 s5, 0x3fe948f6
	s_mov_b32 s8, 0xe976ee23
	v_fma_f64 v[0:1], v[52:53], v[0:1], v[28:29]
	v_fma_f64 v[2:3], v[52:53], v[2:3], -v[30:31]
	s_waitcnt lgkmcnt(0)
	v_mul_f64 v[28:29], v[58:59], v[26:27]
	v_mul_f64 v[30:31], v[58:59], v[24:25]
	v_fma_f64 v[4:5], v[48:49], v[4:5], v[32:33]
	v_fma_f64 v[6:7], v[48:49], v[6:7], -v[34:35]
	v_mul_f64 v[32:33], v[46:47], v[10:11]
	v_mul_f64 v[34:35], v[46:47], v[8:9]
	v_mul_f64 v[46:47], v[42:43], v[18:19]
	v_mul_f64 v[42:43], v[42:43], v[16:17]
	v_fma_f64 v[24:25], v[56:57], v[24:25], v[28:29]
	v_fma_f64 v[26:27], v[56:57], v[26:27], -v[30:31]
	v_fma_f64 v[20:21], v[60:61], v[20:21], v[36:37]
	v_fma_f64 v[22:23], v[60:61], v[22:23], -v[38:39]
	;; [unrolled: 2-line block ×4, first 2 shown]
	v_add_f64 v[28:29], v[0:1], v[24:25]
	v_add_f64 v[30:31], v[2:3], v[26:27]
	v_add_f64 v[0:1], v[0:1], -v[24:25]
	v_add_f64 v[2:3], v[2:3], -v[26:27]
	v_add_f64 v[24:25], v[4:5], v[20:21]
	v_add_f64 v[26:27], v[6:7], v[22:23]
	v_add_f64 v[4:5], v[4:5], -v[20:21]
	v_add_f64 v[6:7], v[6:7], -v[22:23]
	;; [unrolled: 4-line block ×4, first 2 shown]
	v_add_f64 v[28:29], v[28:29], -v[20:21]
	v_add_f64 v[30:31], v[30:31], -v[22:23]
	v_add_f64 v[36:37], v[8:9], v[4:5]
	v_add_f64 v[38:39], v[10:11], v[6:7]
	;; [unrolled: 1-line block ×4, first 2 shown]
	v_add_f64 v[24:25], v[20:21], -v[24:25]
	v_add_f64 v[26:27], v[22:23], -v[26:27]
	;; [unrolled: 1-line block ×8, first 2 shown]
	v_add_f64 v[20:21], v[36:37], v[0:1]
	v_add_f64 v[22:23], v[38:39], v[2:3]
	;; [unrolled: 1-line block ×4, first 2 shown]
	v_mul_f64 v[12:13], v[28:29], s[4:5]
	v_mul_f64 v[14:15], v[30:31], s[4:5]
	s_mov_b32 s4, 0x36b3c0b5
	s_mov_b32 s5, 0x3fac98ee
	v_mul_f64 v[28:29], v[24:25], s[4:5]
	v_mul_f64 v[30:31], v[26:27], s[4:5]
	s_mov_b32 s9, 0x3fe11646
	v_mul_f64 v[36:37], v[40:41], s[8:9]
	v_mul_f64 v[38:39], v[42:43], s[8:9]
	s_mov_b32 s8, 0x429ad128
	s_mov_b32 s9, 0xbfebfeb5
	v_mul_f64 v[40:41], v[4:5], s[8:9]
	v_mul_f64 v[42:43], v[6:7], s[8:9]
	v_fma_f64 v[24:25], v[24:25], s[4:5], v[12:13]
	v_fma_f64 v[26:27], v[26:27], s[4:5], v[14:15]
	s_mov_b32 s5, 0x3fe77f67
	s_mov_b32 s4, 0x5476071b
	;; [unrolled: 1-line block ×3, first 2 shown]
	v_fma_f64 v[28:29], v[32:33], s[4:5], -v[28:29]
	v_fma_f64 v[30:31], v[34:35], s[4:5], -v[30:31]
	s_mov_b32 s5, 0xbfe77f67
	s_mov_b32 s11, 0xbff2aaaa
	v_fma_f64 v[12:13], v[32:33], s[4:5], -v[12:13]
	v_fma_f64 v[14:15], v[34:35], s[4:5], -v[14:15]
	s_mov_b32 s5, 0xbfd5d0dc
	s_mov_b32 s4, 0xb247c609
	v_fma_f64 v[16:17], v[16:17], s[10:11], v[0:1]
	v_fma_f64 v[18:19], v[18:19], s[10:11], v[2:3]
	;; [unrolled: 1-line block ×4, first 2 shown]
	s_mov_b32 s5, 0x3fd5d0dc
	v_fma_f64 v[8:9], v[8:9], s[4:5], -v[40:41]
	v_fma_f64 v[10:11], v[10:11], s[4:5], -v[42:43]
	;; [unrolled: 1-line block ×4, first 2 shown]
	s_mov_b32 s4, 0x37c3f68c
	s_mov_b32 s5, 0xbfdc38aa
	v_add_f64 v[24:25], v[24:25], v[16:17]
	v_add_f64 v[26:27], v[26:27], v[18:19]
	v_fma_f64 v[34:35], v[22:23], s[4:5], v[34:35]
	v_fma_f64 v[32:33], v[20:21], s[4:5], v[32:33]
	v_add_f64 v[36:37], v[12:13], v[16:17]
	v_add_f64 v[38:39], v[14:15], v[18:19]
	v_fma_f64 v[40:41], v[22:23], s[4:5], v[10:11]
	v_fma_f64 v[42:43], v[20:21], s[4:5], v[8:9]
	;; [unrolled: 4-line block ×3, first 2 shown]
	v_add_f64 v[4:5], v[34:35], v[24:25]
	v_add_f64 v[6:7], v[26:27], -v[32:33]
	v_add_f64 v[8:9], v[40:41], v[36:37]
	v_add_f64 v[10:11], v[38:39], -v[42:43]
	v_add_f64 v[20:21], v[36:37], -v[40:41]
	v_add_f64 v[22:23], v[42:43], v[38:39]
	v_add_f64 v[12:13], v[28:29], -v[16:17]
	v_add_f64 v[14:15], v[18:19], v[30:31]
	v_add_f64 v[16:17], v[16:17], v[28:29]
	v_add_f64 v[18:19], v[30:31], -v[18:19]
	v_add_f64 v[24:25], v[24:25], -v[34:35]
	v_add_f64 v[26:27], v[32:33], v[26:27]
	ds_write_b128 v194, v[0:3]
	ds_write_b128 v194, v[4:7] offset:272
	ds_write_b128 v194, v[8:11] offset:544
	;; [unrolled: 1-line block ×6, first 2 shown]
	s_waitcnt lgkmcnt(0)
	s_barrier
	s_and_b64 exec, exec, vcc
	s_cbranch_execz .LBB0_15
; %bb.14:
	global_load_dwordx4 v[0:3], v211, s[6:7]
	ds_read_b128 v[4:7], v194
	ds_read_b128 v[8:11], v194 offset:112
	v_mad_u64_u32 v[12:13], s[4:5], s2, v128, 0
	v_mad_u64_u32 v[14:15], s[4:5], s0, v255, 0
	s_mul_i32 s5, s1, 0x70
	s_mul_hi_u32 s8, s0, 0x70
	v_mad_u64_u32 v[18:19], s[2:3], s3, v128, v[13:14]
	s_mul_i32 s4, s0, 0x70
	s_add_i32 s5, s8, s5
	v_mov_b32_e32 v13, v18
	s_waitcnt vmcnt(0) lgkmcnt(1)
	v_mul_f64 v[16:17], v[6:7], v[2:3]
	v_mul_f64 v[2:3], v[4:5], v[2:3]
	v_fma_f64 v[4:5], v[4:5], v[0:1], v[16:17]
	v_fma_f64 v[0:1], v[0:1], v[6:7], -v[2:3]
	v_mad_u64_u32 v[19:20], s[2:3], s1, v255, v[15:16]
	s_mov_b32 s2, 0x1135c811
	s_mov_b32 s3, 0x3f8135c8
	v_lshlrev_b64 v[6:7], 4, v[12:13]
	v_mov_b32_e32 v15, v19
	v_mul_f64 v[2:3], v[4:5], s[2:3]
	v_mul_f64 v[4:5], v[0:1], s[2:3]
	v_mov_b32_e32 v16, s13
	v_lshlrev_b64 v[12:13], 4, v[14:15]
	v_add_co_u32_e32 v0, vcc, s12, v6
	v_addc_co_u32_e32 v1, vcc, v16, v7, vcc
	v_add_co_u32_e32 v6, vcc, v0, v12
	v_addc_co_u32_e32 v7, vcc, v1, v13, vcc
	global_store_dwordx4 v[6:7], v[2:5], off
	global_load_dwordx4 v[2:5], v211, s[6:7] offset:112
	v_add_co_u32_e32 v14, vcc, s4, v6
	s_waitcnt vmcnt(0) lgkmcnt(0)
	v_mul_f64 v[12:13], v[10:11], v[4:5]
	v_mul_f64 v[4:5], v[8:9], v[4:5]
	v_fma_f64 v[8:9], v[8:9], v[2:3], v[12:13]
	v_fma_f64 v[4:5], v[2:3], v[10:11], -v[4:5]
	v_mul_f64 v[2:3], v[8:9], s[2:3]
	v_mul_f64 v[4:5], v[4:5], s[2:3]
	v_mov_b32_e32 v8, s5
	v_addc_co_u32_e32 v15, vcc, v7, v8, vcc
	global_store_dwordx4 v[14:15], v[2:5], off
	global_load_dwordx4 v[2:5], v211, s[6:7] offset:224
	ds_read_b128 v[6:9], v194 offset:224
	ds_read_b128 v[10:13], v194 offset:336
	s_waitcnt vmcnt(0) lgkmcnt(1)
	v_mul_f64 v[16:17], v[8:9], v[4:5]
	v_mul_f64 v[4:5], v[6:7], v[4:5]
	v_fma_f64 v[6:7], v[6:7], v[2:3], v[16:17]
	v_fma_f64 v[4:5], v[2:3], v[8:9], -v[4:5]
	v_mul_f64 v[2:3], v[6:7], s[2:3]
	v_mul_f64 v[4:5], v[4:5], s[2:3]
	v_mov_b32_e32 v7, s5
	v_add_co_u32_e32 v6, vcc, s4, v14
	v_addc_co_u32_e32 v7, vcc, v15, v7, vcc
	v_add_co_u32_e32 v14, vcc, s4, v6
	global_store_dwordx4 v[6:7], v[2:5], off
	global_load_dwordx4 v[2:5], v211, s[6:7] offset:336
	s_waitcnt vmcnt(0) lgkmcnt(0)
	v_mul_f64 v[8:9], v[12:13], v[4:5]
	v_mul_f64 v[4:5], v[10:11], v[4:5]
	v_fma_f64 v[8:9], v[10:11], v[2:3], v[8:9]
	v_fma_f64 v[4:5], v[2:3], v[12:13], -v[4:5]
	v_mul_f64 v[2:3], v[8:9], s[2:3]
	v_mul_f64 v[4:5], v[4:5], s[2:3]
	v_mov_b32_e32 v8, s5
	v_addc_co_u32_e32 v15, vcc, v7, v8, vcc
	global_store_dwordx4 v[14:15], v[2:5], off
	global_load_dwordx4 v[2:5], v211, s[6:7] offset:448
	ds_read_b128 v[6:9], v194 offset:448
	ds_read_b128 v[10:13], v194 offset:560
	s_waitcnt vmcnt(0) lgkmcnt(1)
	v_mul_f64 v[16:17], v[8:9], v[4:5]
	v_mul_f64 v[4:5], v[6:7], v[4:5]
	v_fma_f64 v[6:7], v[6:7], v[2:3], v[16:17]
	v_fma_f64 v[4:5], v[2:3], v[8:9], -v[4:5]
	v_mul_f64 v[2:3], v[6:7], s[2:3]
	v_mul_f64 v[4:5], v[4:5], s[2:3]
	v_mov_b32_e32 v7, s5
	v_add_co_u32_e32 v6, vcc, s4, v14
	v_addc_co_u32_e32 v7, vcc, v15, v7, vcc
	v_add_co_u32_e32 v14, vcc, s4, v6
	global_store_dwordx4 v[6:7], v[2:5], off
	global_load_dwordx4 v[2:5], v211, s[6:7] offset:560
	;; [unrolled: 26-line block ×3, first 2 shown]
	s_waitcnt vmcnt(0) lgkmcnt(0)
	v_mul_f64 v[8:9], v[12:13], v[4:5]
	v_mul_f64 v[4:5], v[10:11], v[4:5]
	v_fma_f64 v[8:9], v[10:11], v[2:3], v[8:9]
	v_fma_f64 v[4:5], v[2:3], v[12:13], -v[4:5]
	v_mul_f64 v[2:3], v[8:9], s[2:3]
	v_mul_f64 v[4:5], v[4:5], s[2:3]
	v_mov_b32_e32 v8, s5
	v_addc_co_u32_e32 v15, vcc, v7, v8, vcc
	global_store_dwordx4 v[14:15], v[2:5], off
	global_load_dwordx4 v[2:5], v211, s[6:7] offset:896
	ds_read_b128 v[6:9], v194 offset:896
	ds_read_b128 v[10:13], v194 offset:1008
	buffer_load_dword v20, off, s[60:63], 0 offset:4 ; 4-byte Folded Reload
	s_waitcnt vmcnt(1) lgkmcnt(1)
	v_mul_f64 v[16:17], v[8:9], v[4:5]
	v_mul_f64 v[4:5], v[6:7], v[4:5]
	s_waitcnt vmcnt(0)
	v_mad_u64_u32 v[18:19], s[8:9], s0, v20, 0
	v_fma_f64 v[6:7], v[6:7], v[2:3], v[16:17]
	v_fma_f64 v[4:5], v[2:3], v[8:9], -v[4:5]
	v_mov_b32_e32 v2, v19
	v_mad_u64_u32 v[8:9], s[8:9], s1, v20, v[2:3]
	v_mov_b32_e32 v19, v8
	v_mul_f64 v[2:3], v[6:7], s[2:3]
	v_mul_f64 v[4:5], v[4:5], s[2:3]
	v_lshlrev_b64 v[6:7], 4, v[18:19]
	v_add_co_u32_e32 v6, vcc, v0, v6
	v_addc_co_u32_e32 v7, vcc, v1, v7, vcc
	global_store_dwordx4 v[6:7], v[2:5], off
	global_load_dwordx4 v[2:5], v211, s[6:7] offset:1008
	s_waitcnt vmcnt(0) lgkmcnt(0)
	v_mul_f64 v[6:7], v[12:13], v[4:5]
	v_mul_f64 v[4:5], v[10:11], v[4:5]
	v_fma_f64 v[6:7], v[10:11], v[2:3], v[6:7]
	v_fma_f64 v[4:5], v[2:3], v[12:13], -v[4:5]
	v_mul_f64 v[2:3], v[6:7], s[2:3]
	v_mul_f64 v[4:5], v[4:5], s[2:3]
	v_mov_b32_e32 v6, 0xe0
	v_mad_u64_u32 v[14:15], s[8:9], s0, v6, v[14:15]
	s_mul_i32 s8, s1, 0xe0
	v_add_u32_e32 v15, s8, v15
	global_store_dwordx4 v[14:15], v[2:5], off
	global_load_dwordx4 v[2:5], v211, s[6:7] offset:1120
	ds_read_b128 v[6:9], v194 offset:1120
	ds_read_b128 v[10:13], v194 offset:1232
	s_waitcnt vmcnt(0) lgkmcnt(1)
	v_mul_f64 v[16:17], v[8:9], v[4:5]
	v_mul_f64 v[4:5], v[6:7], v[4:5]
	v_fma_f64 v[6:7], v[6:7], v[2:3], v[16:17]
	v_fma_f64 v[4:5], v[2:3], v[8:9], -v[4:5]
	v_mul_f64 v[2:3], v[6:7], s[2:3]
	v_mul_f64 v[4:5], v[4:5], s[2:3]
	v_mov_b32_e32 v7, s5
	v_add_co_u32_e32 v6, vcc, s4, v14
	v_addc_co_u32_e32 v7, vcc, v15, v7, vcc
	v_add_co_u32_e32 v14, vcc, s4, v6
	global_store_dwordx4 v[6:7], v[2:5], off
	global_load_dwordx4 v[2:5], v211, s[6:7] offset:1232
	s_waitcnt vmcnt(0) lgkmcnt(0)
	v_mul_f64 v[8:9], v[12:13], v[4:5]
	v_mul_f64 v[4:5], v[10:11], v[4:5]
	v_fma_f64 v[8:9], v[10:11], v[2:3], v[8:9]
	v_fma_f64 v[4:5], v[2:3], v[12:13], -v[4:5]
	v_mul_f64 v[2:3], v[8:9], s[2:3]
	v_mul_f64 v[4:5], v[4:5], s[2:3]
	v_mov_b32_e32 v8, s5
	v_addc_co_u32_e32 v15, vcc, v7, v8, vcc
	global_store_dwordx4 v[14:15], v[2:5], off
	global_load_dwordx4 v[2:5], v211, s[6:7] offset:1344
	ds_read_b128 v[6:9], v194 offset:1344
	ds_read_b128 v[10:13], v194 offset:1456
	s_waitcnt vmcnt(0) lgkmcnt(1)
	v_mul_f64 v[16:17], v[8:9], v[4:5]
	v_mul_f64 v[4:5], v[6:7], v[4:5]
	v_fma_f64 v[6:7], v[6:7], v[2:3], v[16:17]
	v_fma_f64 v[4:5], v[2:3], v[8:9], -v[4:5]
	v_mul_f64 v[2:3], v[6:7], s[2:3]
	v_mul_f64 v[4:5], v[4:5], s[2:3]
	v_mov_b32_e32 v7, s5
	v_add_co_u32_e32 v6, vcc, s4, v14
	v_addc_co_u32_e32 v7, vcc, v15, v7, vcc
	v_add_co_u32_e32 v14, vcc, s4, v6
	global_store_dwordx4 v[6:7], v[2:5], off
	global_load_dwordx4 v[2:5], v211, s[6:7] offset:1456
	s_waitcnt vmcnt(0) lgkmcnt(0)
	v_mul_f64 v[8:9], v[12:13], v[4:5]
	v_mul_f64 v[4:5], v[10:11], v[4:5]
	v_fma_f64 v[8:9], v[10:11], v[2:3], v[8:9]
	v_fma_f64 v[4:5], v[2:3], v[12:13], -v[4:5]
	v_mul_f64 v[2:3], v[8:9], s[2:3]
	v_mul_f64 v[4:5], v[4:5], s[2:3]
	v_mov_b32_e32 v8, s5
	v_addc_co_u32_e32 v15, vcc, v7, v8, vcc
	global_store_dwordx4 v[14:15], v[2:5], off
	global_load_dwordx4 v[2:5], v211, s[6:7] offset:1568
	ds_read_b128 v[6:9], v194 offset:1568
	ds_read_b128 v[10:13], v194 offset:1680
	s_waitcnt vmcnt(0) lgkmcnt(1)
	v_mul_f64 v[16:17], v[8:9], v[4:5]
	v_mul_f64 v[4:5], v[6:7], v[4:5]
	v_fma_f64 v[6:7], v[6:7], v[2:3], v[16:17]
	v_fma_f64 v[4:5], v[2:3], v[8:9], -v[4:5]
	v_mul_f64 v[2:3], v[6:7], s[2:3]
	v_mul_f64 v[4:5], v[4:5], s[2:3]
	v_mov_b32_e32 v7, s5
	v_add_co_u32_e32 v6, vcc, s4, v14
	v_addc_co_u32_e32 v7, vcc, v15, v7, vcc
	global_store_dwordx4 v[6:7], v[2:5], off
	global_load_dwordx4 v[2:5], v211, s[6:7] offset:1680
	v_add_co_u32_e32 v6, vcc, s4, v6
	s_waitcnt vmcnt(0) lgkmcnt(0)
	v_mul_f64 v[8:9], v[12:13], v[4:5]
	v_mul_f64 v[4:5], v[10:11], v[4:5]
	v_fma_f64 v[8:9], v[10:11], v[2:3], v[8:9]
	v_fma_f64 v[4:5], v[2:3], v[12:13], -v[4:5]
	v_or_b32_e32 v12, 0x70, v255
	v_mul_f64 v[2:3], v[8:9], s[2:3]
	v_mul_f64 v[4:5], v[4:5], s[2:3]
	v_mov_b32_e32 v8, s5
	v_addc_co_u32_e32 v7, vcc, v7, v8, vcc
	global_store_dwordx4 v[6:7], v[2:5], off
	global_load_dwordx4 v[2:5], v211, s[6:7] offset:1792
	ds_read_b128 v[6:9], v194 offset:1792
	s_waitcnt vmcnt(0) lgkmcnt(0)
	v_mul_f64 v[10:11], v[8:9], v[4:5]
	v_mul_f64 v[4:5], v[6:7], v[4:5]
	v_fma_f64 v[6:7], v[6:7], v[2:3], v[10:11]
	v_fma_f64 v[4:5], v[2:3], v[8:9], -v[4:5]
	v_mad_u64_u32 v[8:9], s[4:5], s0, v12, 0
	v_mov_b32_e32 v2, v9
	v_mad_u64_u32 v[9:10], s[0:1], s1, v12, v[2:3]
	v_mul_f64 v[2:3], v[6:7], s[2:3]
	v_mul_f64 v[4:5], v[4:5], s[2:3]
	v_lshlrev_b64 v[6:7], 4, v[8:9]
	v_add_co_u32_e32 v0, vcc, v0, v6
	v_addc_co_u32_e32 v1, vcc, v1, v7, vcc
	global_store_dwordx4 v[0:1], v[2:5], off
.LBB0_15:
	s_endpgm
	.section	.rodata,"a",@progbits
	.p2align	6, 0x0
	.amdhsa_kernel bluestein_single_fwd_len119_dim1_dp_op_CI_CI
		.amdhsa_group_segment_fixed_size 28560
		.amdhsa_private_segment_fixed_size 372
		.amdhsa_kernarg_size 104
		.amdhsa_user_sgpr_count 6
		.amdhsa_user_sgpr_private_segment_buffer 1
		.amdhsa_user_sgpr_dispatch_ptr 0
		.amdhsa_user_sgpr_queue_ptr 0
		.amdhsa_user_sgpr_kernarg_segment_ptr 1
		.amdhsa_user_sgpr_dispatch_id 0
		.amdhsa_user_sgpr_flat_scratch_init 0
		.amdhsa_user_sgpr_private_segment_size 0
		.amdhsa_uses_dynamic_stack 0
		.amdhsa_system_sgpr_private_segment_wavefront_offset 1
		.amdhsa_system_sgpr_workgroup_id_x 1
		.amdhsa_system_sgpr_workgroup_id_y 0
		.amdhsa_system_sgpr_workgroup_id_z 0
		.amdhsa_system_sgpr_workgroup_info 0
		.amdhsa_system_vgpr_workitem_id 0
		.amdhsa_next_free_vgpr 256
		.amdhsa_next_free_sgpr 64
		.amdhsa_reserve_vcc 1
		.amdhsa_reserve_flat_scratch 0
		.amdhsa_float_round_mode_32 0
		.amdhsa_float_round_mode_16_64 0
		.amdhsa_float_denorm_mode_32 3
		.amdhsa_float_denorm_mode_16_64 3
		.amdhsa_dx10_clamp 1
		.amdhsa_ieee_mode 1
		.amdhsa_fp16_overflow 0
		.amdhsa_exception_fp_ieee_invalid_op 0
		.amdhsa_exception_fp_denorm_src 0
		.amdhsa_exception_fp_ieee_div_zero 0
		.amdhsa_exception_fp_ieee_overflow 0
		.amdhsa_exception_fp_ieee_underflow 0
		.amdhsa_exception_fp_ieee_inexact 0
		.amdhsa_exception_int_div_zero 0
	.end_amdhsa_kernel
	.text
.Lfunc_end0:
	.size	bluestein_single_fwd_len119_dim1_dp_op_CI_CI, .Lfunc_end0-bluestein_single_fwd_len119_dim1_dp_op_CI_CI
                                        ; -- End function
	.section	.AMDGPU.csdata,"",@progbits
; Kernel info:
; codeLenInByte = 22052
; NumSgprs: 68
; NumVgprs: 256
; ScratchSize: 372
; MemoryBound: 0
; FloatMode: 240
; IeeeMode: 1
; LDSByteSize: 28560 bytes/workgroup (compile time only)
; SGPRBlocks: 8
; VGPRBlocks: 63
; NumSGPRsForWavesPerEU: 68
; NumVGPRsForWavesPerEU: 256
; Occupancy: 1
; WaveLimiterHint : 1
; COMPUTE_PGM_RSRC2:SCRATCH_EN: 1
; COMPUTE_PGM_RSRC2:USER_SGPR: 6
; COMPUTE_PGM_RSRC2:TRAP_HANDLER: 0
; COMPUTE_PGM_RSRC2:TGID_X_EN: 1
; COMPUTE_PGM_RSRC2:TGID_Y_EN: 0
; COMPUTE_PGM_RSRC2:TGID_Z_EN: 0
; COMPUTE_PGM_RSRC2:TIDIG_COMP_CNT: 0
	.type	__hip_cuid_9ecfb183a66bee26,@object ; @__hip_cuid_9ecfb183a66bee26
	.section	.bss,"aw",@nobits
	.globl	__hip_cuid_9ecfb183a66bee26
__hip_cuid_9ecfb183a66bee26:
	.byte	0                               ; 0x0
	.size	__hip_cuid_9ecfb183a66bee26, 1

	.ident	"AMD clang version 19.0.0git (https://github.com/RadeonOpenCompute/llvm-project roc-6.4.0 25133 c7fe45cf4b819c5991fe208aaa96edf142730f1d)"
	.section	".note.GNU-stack","",@progbits
	.addrsig
	.addrsig_sym __hip_cuid_9ecfb183a66bee26
	.amdgpu_metadata
---
amdhsa.kernels:
  - .args:
      - .actual_access:  read_only
        .address_space:  global
        .offset:         0
        .size:           8
        .value_kind:     global_buffer
      - .actual_access:  read_only
        .address_space:  global
        .offset:         8
        .size:           8
        .value_kind:     global_buffer
      - .actual_access:  read_only
        .address_space:  global
        .offset:         16
        .size:           8
        .value_kind:     global_buffer
      - .actual_access:  read_only
        .address_space:  global
        .offset:         24
        .size:           8
        .value_kind:     global_buffer
      - .actual_access:  read_only
        .address_space:  global
        .offset:         32
        .size:           8
        .value_kind:     global_buffer
      - .offset:         40
        .size:           8
        .value_kind:     by_value
      - .address_space:  global
        .offset:         48
        .size:           8
        .value_kind:     global_buffer
      - .address_space:  global
        .offset:         56
        .size:           8
        .value_kind:     global_buffer
      - .address_space:  global
        .offset:         64
        .size:           8
        .value_kind:     global_buffer
      - .address_space:  global
        .offset:         72
        .size:           8
        .value_kind:     global_buffer
      - .offset:         80
        .size:           4
        .value_kind:     by_value
      - .address_space:  global
        .offset:         88
        .size:           8
        .value_kind:     global_buffer
      - .address_space:  global
        .offset:         96
        .size:           8
        .value_kind:     global_buffer
    .group_segment_fixed_size: 28560
    .kernarg_segment_align: 8
    .kernarg_segment_size: 104
    .language:       OpenCL C
    .language_version:
      - 2
      - 0
    .max_flat_workgroup_size: 255
    .name:           bluestein_single_fwd_len119_dim1_dp_op_CI_CI
    .private_segment_fixed_size: 372
    .sgpr_count:     68
    .sgpr_spill_count: 0
    .symbol:         bluestein_single_fwd_len119_dim1_dp_op_CI_CI.kd
    .uniform_work_group_size: 1
    .uses_dynamic_stack: false
    .vgpr_count:     256
    .vgpr_spill_count: 92
    .wavefront_size: 64
amdhsa.target:   amdgcn-amd-amdhsa--gfx906
amdhsa.version:
  - 1
  - 2
...

	.end_amdgpu_metadata
